;; amdgpu-corpus repo=ROCm/rocFFT kind=compiled arch=gfx1030 opt=O3
	.text
	.amdgcn_target "amdgcn-amd-amdhsa--gfx1030"
	.amdhsa_code_object_version 6
	.protected	fft_rtc_fwd_len3600_factors_10_10_6_6_wgs_120_tpt_120_halfLds_half_op_CI_CI_unitstride_sbrr_R2C_dirReg ; -- Begin function fft_rtc_fwd_len3600_factors_10_10_6_6_wgs_120_tpt_120_halfLds_half_op_CI_CI_unitstride_sbrr_R2C_dirReg
	.globl	fft_rtc_fwd_len3600_factors_10_10_6_6_wgs_120_tpt_120_halfLds_half_op_CI_CI_unitstride_sbrr_R2C_dirReg
	.p2align	8
	.type	fft_rtc_fwd_len3600_factors_10_10_6_6_wgs_120_tpt_120_halfLds_half_op_CI_CI_unitstride_sbrr_R2C_dirReg,@function
fft_rtc_fwd_len3600_factors_10_10_6_6_wgs_120_tpt_120_halfLds_half_op_CI_CI_unitstride_sbrr_R2C_dirReg: ; @fft_rtc_fwd_len3600_factors_10_10_6_6_wgs_120_tpt_120_halfLds_half_op_CI_CI_unitstride_sbrr_R2C_dirReg
; %bb.0:
	s_clause 0x2
	s_load_dwordx4 s[12:15], s[4:5], 0x0
	s_load_dwordx4 s[8:11], s[4:5], 0x58
	;; [unrolled: 1-line block ×3, first 2 shown]
	v_mul_u32_u24_e32 v1, 0x223, v0
	v_mov_b32_e32 v3, 0
	v_add_nc_u32_sdwa v5, s6, v1 dst_sel:DWORD dst_unused:UNUSED_PAD src0_sel:DWORD src1_sel:WORD_1
	v_mov_b32_e32 v1, 0
	v_mov_b32_e32 v6, v3
	v_mov_b32_e32 v2, 0
	s_waitcnt lgkmcnt(0)
	v_cmp_lt_u64_e64 s0, s[14:15], 2
	s_and_b32 vcc_lo, exec_lo, s0
	s_cbranch_vccnz .LBB0_8
; %bb.1:
	s_load_dwordx2 s[0:1], s[4:5], 0x10
	v_mov_b32_e32 v1, 0
	v_mov_b32_e32 v2, 0
	s_add_u32 s2, s18, 8
	s_addc_u32 s3, s19, 0
	s_add_u32 s6, s16, 8
	s_addc_u32 s7, s17, 0
	v_mov_b32_e32 v27, v2
	v_mov_b32_e32 v26, v1
	s_mov_b64 s[22:23], 1
	s_waitcnt lgkmcnt(0)
	s_add_u32 s20, s0, 8
	s_addc_u32 s21, s1, 0
.LBB0_2:                                ; =>This Inner Loop Header: Depth=1
	s_load_dwordx2 s[24:25], s[20:21], 0x0
                                        ; implicit-def: $vgpr30_vgpr31
	s_mov_b32 s0, exec_lo
	s_waitcnt lgkmcnt(0)
	v_or_b32_e32 v4, s25, v6
	v_cmpx_ne_u64_e32 0, v[3:4]
	s_xor_b32 s1, exec_lo, s0
	s_cbranch_execz .LBB0_4
; %bb.3:                                ;   in Loop: Header=BB0_2 Depth=1
	v_cvt_f32_u32_e32 v4, s24
	v_cvt_f32_u32_e32 v7, s25
	s_sub_u32 s0, 0, s24
	s_subb_u32 s26, 0, s25
	v_fmac_f32_e32 v4, 0x4f800000, v7
	v_rcp_f32_e32 v4, v4
	v_mul_f32_e32 v4, 0x5f7ffffc, v4
	v_mul_f32_e32 v7, 0x2f800000, v4
	v_trunc_f32_e32 v7, v7
	v_fmac_f32_e32 v4, 0xcf800000, v7
	v_cvt_u32_f32_e32 v7, v7
	v_cvt_u32_f32_e32 v4, v4
	v_mul_lo_u32 v8, s0, v7
	v_mul_hi_u32 v9, s0, v4
	v_mul_lo_u32 v10, s26, v4
	v_add_nc_u32_e32 v8, v9, v8
	v_mul_lo_u32 v9, s0, v4
	v_add_nc_u32_e32 v8, v8, v10
	v_mul_hi_u32 v10, v4, v9
	v_mul_lo_u32 v11, v4, v8
	v_mul_hi_u32 v12, v4, v8
	v_mul_hi_u32 v13, v7, v9
	v_mul_lo_u32 v9, v7, v9
	v_mul_hi_u32 v14, v7, v8
	v_mul_lo_u32 v8, v7, v8
	v_add_co_u32 v10, vcc_lo, v10, v11
	v_add_co_ci_u32_e32 v11, vcc_lo, 0, v12, vcc_lo
	v_add_co_u32 v9, vcc_lo, v10, v9
	v_add_co_ci_u32_e32 v9, vcc_lo, v11, v13, vcc_lo
	v_add_co_ci_u32_e32 v10, vcc_lo, 0, v14, vcc_lo
	v_add_co_u32 v8, vcc_lo, v9, v8
	v_add_co_ci_u32_e32 v9, vcc_lo, 0, v10, vcc_lo
	v_add_co_u32 v4, vcc_lo, v4, v8
	v_add_co_ci_u32_e32 v7, vcc_lo, v7, v9, vcc_lo
	v_mul_hi_u32 v8, s0, v4
	v_mul_lo_u32 v10, s26, v4
	v_mul_lo_u32 v9, s0, v7
	v_add_nc_u32_e32 v8, v8, v9
	v_mul_lo_u32 v9, s0, v4
	v_add_nc_u32_e32 v8, v8, v10
	v_mul_hi_u32 v10, v4, v9
	v_mul_lo_u32 v11, v4, v8
	v_mul_hi_u32 v12, v4, v8
	v_mul_hi_u32 v13, v7, v9
	v_mul_lo_u32 v9, v7, v9
	v_mul_hi_u32 v14, v7, v8
	v_mul_lo_u32 v8, v7, v8
	v_add_co_u32 v10, vcc_lo, v10, v11
	v_add_co_ci_u32_e32 v11, vcc_lo, 0, v12, vcc_lo
	v_add_co_u32 v9, vcc_lo, v10, v9
	v_add_co_ci_u32_e32 v9, vcc_lo, v11, v13, vcc_lo
	v_add_co_ci_u32_e32 v10, vcc_lo, 0, v14, vcc_lo
	v_add_co_u32 v8, vcc_lo, v9, v8
	v_add_co_ci_u32_e32 v9, vcc_lo, 0, v10, vcc_lo
	v_add_co_u32 v4, vcc_lo, v4, v8
	v_add_co_ci_u32_e32 v11, vcc_lo, v7, v9, vcc_lo
	v_mul_hi_u32 v13, v5, v4
	v_mad_u64_u32 v[9:10], null, v6, v4, 0
	v_mad_u64_u32 v[7:8], null, v5, v11, 0
	;; [unrolled: 1-line block ×3, first 2 shown]
	v_add_co_u32 v4, vcc_lo, v13, v7
	v_add_co_ci_u32_e32 v7, vcc_lo, 0, v8, vcc_lo
	v_add_co_u32 v4, vcc_lo, v4, v9
	v_add_co_ci_u32_e32 v4, vcc_lo, v7, v10, vcc_lo
	v_add_co_ci_u32_e32 v7, vcc_lo, 0, v12, vcc_lo
	v_add_co_u32 v4, vcc_lo, v4, v11
	v_add_co_ci_u32_e32 v9, vcc_lo, 0, v7, vcc_lo
	v_mul_lo_u32 v10, s25, v4
	v_mad_u64_u32 v[7:8], null, s24, v4, 0
	v_mul_lo_u32 v11, s24, v9
	v_sub_co_u32 v7, vcc_lo, v5, v7
	v_add3_u32 v8, v8, v11, v10
	v_sub_nc_u32_e32 v10, v6, v8
	v_subrev_co_ci_u32_e64 v10, s0, s25, v10, vcc_lo
	v_add_co_u32 v11, s0, v4, 2
	v_add_co_ci_u32_e64 v12, s0, 0, v9, s0
	v_sub_co_u32 v13, s0, v7, s24
	v_sub_co_ci_u32_e32 v8, vcc_lo, v6, v8, vcc_lo
	v_subrev_co_ci_u32_e64 v10, s0, 0, v10, s0
	v_cmp_le_u32_e32 vcc_lo, s24, v13
	v_cmp_eq_u32_e64 s0, s25, v8
	v_cndmask_b32_e64 v13, 0, -1, vcc_lo
	v_cmp_le_u32_e32 vcc_lo, s25, v10
	v_cndmask_b32_e64 v14, 0, -1, vcc_lo
	v_cmp_le_u32_e32 vcc_lo, s24, v7
	;; [unrolled: 2-line block ×3, first 2 shown]
	v_cndmask_b32_e64 v15, 0, -1, vcc_lo
	v_cmp_eq_u32_e32 vcc_lo, s25, v10
	v_cndmask_b32_e64 v7, v15, v7, s0
	v_cndmask_b32_e32 v10, v14, v13, vcc_lo
	v_add_co_u32 v13, vcc_lo, v4, 1
	v_add_co_ci_u32_e32 v14, vcc_lo, 0, v9, vcc_lo
	v_cmp_ne_u32_e32 vcc_lo, 0, v10
	v_cndmask_b32_e32 v8, v14, v12, vcc_lo
	v_cndmask_b32_e32 v10, v13, v11, vcc_lo
	v_cmp_ne_u32_e32 vcc_lo, 0, v7
	v_cndmask_b32_e32 v31, v9, v8, vcc_lo
	v_cndmask_b32_e32 v30, v4, v10, vcc_lo
.LBB0_4:                                ;   in Loop: Header=BB0_2 Depth=1
	s_andn2_saveexec_b32 s0, s1
	s_cbranch_execz .LBB0_6
; %bb.5:                                ;   in Loop: Header=BB0_2 Depth=1
	v_cvt_f32_u32_e32 v4, s24
	s_sub_i32 s1, 0, s24
	v_mov_b32_e32 v31, v3
	v_rcp_iflag_f32_e32 v4, v4
	v_mul_f32_e32 v4, 0x4f7ffffe, v4
	v_cvt_u32_f32_e32 v4, v4
	v_mul_lo_u32 v7, s1, v4
	v_mul_hi_u32 v7, v4, v7
	v_add_nc_u32_e32 v4, v4, v7
	v_mul_hi_u32 v4, v5, v4
	v_mul_lo_u32 v7, v4, s24
	v_add_nc_u32_e32 v8, 1, v4
	v_sub_nc_u32_e32 v7, v5, v7
	v_subrev_nc_u32_e32 v9, s24, v7
	v_cmp_le_u32_e32 vcc_lo, s24, v7
	v_cndmask_b32_e32 v7, v7, v9, vcc_lo
	v_cndmask_b32_e32 v4, v4, v8, vcc_lo
	v_cmp_le_u32_e32 vcc_lo, s24, v7
	v_add_nc_u32_e32 v8, 1, v4
	v_cndmask_b32_e32 v30, v4, v8, vcc_lo
.LBB0_6:                                ;   in Loop: Header=BB0_2 Depth=1
	s_or_b32 exec_lo, exec_lo, s0
	v_mul_lo_u32 v4, v31, s24
	v_mul_lo_u32 v9, v30, s25
	s_load_dwordx2 s[0:1], s[6:7], 0x0
	v_mad_u64_u32 v[7:8], null, v30, s24, 0
	s_load_dwordx2 s[24:25], s[2:3], 0x0
	s_add_u32 s22, s22, 1
	s_addc_u32 s23, s23, 0
	s_add_u32 s2, s2, 8
	s_addc_u32 s3, s3, 0
	s_add_u32 s6, s6, 8
	v_add3_u32 v4, v8, v9, v4
	v_sub_co_u32 v5, vcc_lo, v5, v7
	s_addc_u32 s7, s7, 0
	s_add_u32 s20, s20, 8
	v_sub_co_ci_u32_e32 v4, vcc_lo, v6, v4, vcc_lo
	s_addc_u32 s21, s21, 0
	s_waitcnt lgkmcnt(0)
	v_mul_lo_u32 v6, s0, v4
	v_mul_lo_u32 v7, s1, v5
	v_mad_u64_u32 v[1:2], null, s0, v5, v[1:2]
	v_mul_lo_u32 v4, s24, v4
	v_mul_lo_u32 v8, s25, v5
	v_mad_u64_u32 v[26:27], null, s24, v5, v[26:27]
	v_cmp_ge_u64_e64 s0, s[22:23], s[14:15]
	v_add3_u32 v2, v7, v2, v6
	v_add3_u32 v27, v8, v27, v4
	s_and_b32 vcc_lo, exec_lo, s0
	s_cbranch_vccnz .LBB0_9
; %bb.7:                                ;   in Loop: Header=BB0_2 Depth=1
	v_mov_b32_e32 v5, v30
	v_mov_b32_e32 v6, v31
	s_branch .LBB0_2
.LBB0_8:
	v_mov_b32_e32 v27, v2
	v_mov_b32_e32 v31, v6
	;; [unrolled: 1-line block ×4, first 2 shown]
.LBB0_9:
	s_load_dwordx2 s[0:1], s[4:5], 0x28
	v_mul_hi_u32 v3, 0x2222223, v0
	s_lshl_b64 s[4:5], s[14:15], 3
                                        ; implicit-def: $vgpr24
                                        ; implicit-def: $vgpr28
                                        ; implicit-def: $vgpr34
                                        ; implicit-def: $vgpr33
                                        ; implicit-def: $vgpr32
	s_add_u32 s2, s18, s4
	s_addc_u32 s3, s19, s5
	s_waitcnt lgkmcnt(0)
	v_cmp_gt_u64_e32 vcc_lo, s[0:1], v[30:31]
	v_cmp_le_u64_e64 s0, s[0:1], v[30:31]
	s_and_saveexec_b32 s1, s0
	s_xor_b32 s0, exec_lo, s1
; %bb.10:
	v_mul_u32_u24_e32 v1, 0x78, v3
                                        ; implicit-def: $vgpr3
	v_sub_nc_u32_e32 v24, v0, v1
                                        ; implicit-def: $vgpr0
                                        ; implicit-def: $vgpr1_vgpr2
	v_add_nc_u32_e32 v28, 0x78, v24
	v_add_nc_u32_e32 v34, 0xf0, v24
	;; [unrolled: 1-line block ×4, first 2 shown]
; %bb.11:
	s_andn2_saveexec_b32 s1, s0
	s_cbranch_execz .LBB0_13
; %bb.12:
	s_add_u32 s4, s16, s4
	s_addc_u32 s5, s17, s5
	v_lshlrev_b64 v[1:2], 2, v[1:2]
	s_load_dwordx2 s[4:5], s[4:5], 0x0
	s_waitcnt lgkmcnt(0)
	v_mul_lo_u32 v6, s5, v30
	v_mul_lo_u32 v7, s4, v31
	v_mad_u64_u32 v[4:5], null, s4, v30, 0
	v_add3_u32 v5, v5, v7, v6
	v_mul_u32_u24_e32 v6, 0x78, v3
	v_lshlrev_b64 v[3:4], 2, v[4:5]
	v_sub_nc_u32_e32 v24, v0, v6
	v_lshlrev_b32_e32 v12, 2, v24
	v_add_co_u32 v0, s0, s8, v3
	v_add_co_ci_u32_e64 v3, s0, s9, v4, s0
	v_add_nc_u32_e32 v28, 0x78, v24
	v_add_co_u32 v4, s0, v0, v1
	v_add_co_ci_u32_e64 v3, s0, v3, v2, s0
	v_or_b32_e32 v2, 0x1e00, v12
	v_add_co_u32 v0, s0, v4, v12
	v_add_co_ci_u32_e64 v1, s0, 0, v3, s0
	v_add_co_u32 v2, s0, v4, v2
	v_add_co_ci_u32_e64 v3, s0, 0, v3, s0
	;; [unrolled: 2-line block ×6, first 2 shown]
	s_clause 0xf
	global_load_dword v13, v[0:1], off
	global_load_dword v14, v[0:1], off offset:480
	global_load_dword v15, v[0:1], off offset:960
	;; [unrolled: 1-line block ×15, first 2 shown]
	v_add_co_u32 v4, s0, 0x2800, v0
	v_add_co_ci_u32_e64 v5, s0, 0, v1, s0
	v_add_co_u32 v0, s0, 0x3000, v0
	v_add_co_ci_u32_e64 v1, s0, 0, v1, s0
	s_clause 0xd
	global_load_dword v36, v[10:11], off offset:448
	global_load_dword v37, v[10:11], off offset:928
	global_load_dword v38, v[10:11], off offset:1408
	global_load_dword v10, v[10:11], off offset:1888
	global_load_dword v11, v[4:5], off offset:320
	global_load_dword v39, v[4:5], off offset:800
	global_load_dword v2, v[2:3], off
	global_load_dword v3, v[8:9], off offset:2016
	global_load_dword v8, v[4:5], off offset:1280
	;; [unrolled: 1-line block ×7, first 2 shown]
	v_add_nc_u32_e32 v1, 0, v12
	v_add_nc_u32_e32 v34, 0xf0, v24
	;; [unrolled: 1-line block ×18, first 2 shown]
	s_waitcnt vmcnt(28)
	ds_write2_b32 v1, v13, v14 offset1:120
	s_waitcnt vmcnt(26)
	ds_write2_b32 v12, v15, v16 offset0:112 offset1:232
	s_waitcnt vmcnt(24)
	ds_write2_b32 v41, v17, v18 offset0:96 offset1:216
	;; [unrolled: 2-line block ×8, first 2 shown]
	ds_write2_b32 v48, v36, v37 offset0:112 offset1:232
	ds_write2_b32 v49, v38, v10 offset0:96 offset1:216
	;; [unrolled: 1-line block ×3, first 2 shown]
	s_waitcnt vmcnt(4)
	ds_write2_b32 v51, v8, v4 offset0:64 offset1:184
	s_waitcnt vmcnt(2)
	ds_write2_b32 v52, v5, v9 offset0:48 offset1:168
	s_waitcnt vmcnt(0)
	ds_write2_b32 v53, v40, v0 offset0:32 offset1:152
.LBB0_13:
	s_or_b32 exec_lo, exec_lo, s1
	v_lshlrev_b32_e32 v25, 2, v24
	s_load_dwordx2 s[2:3], s[2:3], 0x0
	s_waitcnt lgkmcnt(0)
	s_barrier
	buffer_gl0_inv
	v_add_nc_u32_e32 v41, 0, v25
	v_mul_i32_i24_e32 v102, 10, v28
	v_cmp_gt_u32_e64 s0, 0x64, v24
	s_add_u32 s1, s12, 0x3818
	s_addc_u32 s4, s13, 0
	v_add_nc_u32_e32 v36, 0xa00, v41
	v_add_nc_u32_e32 v39, 0x1600, v41
	;; [unrolled: 1-line block ×9, first 2 shown]
	ds_read2_b32 v[2:3], v41 offset1:120
	ds_read2_b32 v[8:9], v36 offset0:80 offset1:200
	ds_read2_b32 v[10:11], v39 offset0:32 offset1:152
	;; [unrolled: 1-line block ×9, first 2 shown]
	s_mov_b32 s5, exec_lo
	s_waitcnt lgkmcnt(9)
	v_lshrrev_b32_e32 v40, 16, v2
	s_waitcnt lgkmcnt(7)
	v_sub_f16_e32 v54, v8, v10
	s_waitcnt lgkmcnt(6)
	v_add_f16_e32 v20, v10, v4
	v_sub_f16_sdwa v45, v10, v4 dst_sel:DWORD dst_unused:UNUSED_PAD src0_sel:WORD_1 src1_sel:WORD_1
	s_waitcnt lgkmcnt(5)
	v_sub_f16_sdwa v44, v8, v6 dst_sel:DWORD dst_unused:UNUSED_PAD src0_sel:WORD_1 src1_sel:WORD_1
	s_waitcnt lgkmcnt(3)
	v_sub_f16_e32 v42, v17, v19
	s_waitcnt lgkmcnt(2)
	v_add_f16_e32 v22, v19, v13
	v_fma_f16 v63, -0.5, v20, v2
	v_pk_add_f16 v20, v2, v8
	s_waitcnt lgkmcnt(1)
	v_sub_f16_e32 v23, v15, v13
	v_sub_f16_sdwa v37, v17, v15 dst_sel:DWORD dst_unused:UNUSED_PAD src0_sel:WORD_1 src1_sel:WORD_1
	v_add_f16_sdwa v29, v19, v13 dst_sel:DWORD dst_unused:UNUSED_PAD src0_sel:WORD_1 src1_sel:WORD_1
	s_waitcnt lgkmcnt(0)
	v_lshrrev_b32_e32 v38, 16, v1
	v_pk_add_f16 v20, v20, v10
	v_add_f16_e32 v60, v42, v23
	v_sub_f16_e32 v42, v10, v8
	v_fma_f16 v55, -0.5, v22, v1
	v_sub_f16_e32 v21, v6, v4
	v_pk_add_f16 v20, v20, v4
	v_sub_f16_sdwa v46, v19, v13 dst_sel:DWORD dst_unused:UNUSED_PAD src0_sel:WORD_1 src1_sel:WORD_1
	v_sub_f16_e32 v43, v17, v15
	v_add_f16_sdwa v56, v10, v4 dst_sel:DWORD dst_unused:UNUSED_PAD src0_sel:WORD_1 src1_sel:WORD_1
	v_fma_f16 v59, -0.5, v29, v38
	v_pk_add_f16 v73, v20, v6
	v_add_f16_e32 v20, v8, v6
	v_fmamk_f16 v29, v37, 0x3b9c, v55
	v_sub_f16_sdwa v57, v8, v10 dst_sel:DWORD dst_unused:UNUSED_PAD src0_sel:WORD_1 src1_sel:WORD_1
	v_sub_f16_sdwa v58, v6, v4 dst_sel:DWORD dst_unused:UNUSED_PAD src0_sel:WORD_1 src1_sel:WORD_1
	v_sub_f16_e32 v61, v8, v6
	v_fma_f16 v75, -0.5, v20, v2
	v_sub_f16_e32 v2, v4, v6
	v_sub_f16_e32 v68, v10, v4
	v_sub_f16_sdwa v4, v4, v6 dst_sel:DWORD dst_unused:UNUSED_PAD src0_sel:WORD_1 src1_sel:WORD_1
	v_sub_f16_e32 v52, v19, v13
	v_fmamk_f16 v76, v45, 0xbb9c, v75
	v_fmac_f16_e32 v75, 0x3b9c, v45
	v_add_f16_e32 v2, v42, v2
	v_add_f16_sdwa v42, v8, v6 dst_sel:DWORD dst_unused:UNUSED_PAD src0_sel:WORD_1 src1_sel:WORD_1
	v_sub_f16_sdwa v8, v10, v8 dst_sel:DWORD dst_unused:UNUSED_PAD src0_sel:WORD_1 src1_sel:WORD_1
	v_fmac_f16_e32 v76, 0x38b4, v44
	v_fmac_f16_e32 v75, 0xb8b4, v44
	v_add_f16_sdwa v10, v17, v15 dst_sel:DWORD dst_unused:UNUSED_PAD src0_sel:WORD_1 src1_sel:WORD_1
	v_sub_f16_sdwa v53, v17, v19 dst_sel:DWORD dst_unused:UNUSED_PAD src0_sel:WORD_1 src1_sel:WORD_1
	v_sub_f16_sdwa v22, v15, v13 dst_sel:DWORD dst_unused:UNUSED_PAD src0_sel:WORD_1 src1_sel:WORD_1
	v_fmac_f16_e32 v76, 0x34f2, v2
	v_fmac_f16_e32 v75, 0x34f2, v2
	v_add_f16_e32 v2, v17, v15
	v_fmamk_f16 v23, v43, 0xbb9c, v59
	v_fmac_f16_e32 v29, 0x38b4, v46
	v_fma_f16 v56, -0.5, v56, v40
	v_fmac_f16_e32 v40, -0.5, v42
	v_add_f16_e32 v4, v8, v4
	v_sub_f16_e32 v6, v13, v15
	v_sub_f16_e32 v8, v19, v17
	v_fma_f16 v42, -0.5, v2, v1
	v_fmac_f16_e32 v38, -0.5, v10
	v_add_f16_e32 v62, v53, v22
	v_fmac_f16_e32 v23, 0xb8b4, v52
	v_fmac_f16_e32 v29, 0x34f2, v60
	v_add_f16_e32 v64, v54, v21
	v_fmamk_f16 v65, v44, 0x3b9c, v63
	v_fmamk_f16 v67, v61, 0xbb9c, v56
	v_pk_add_f16 v21, v1, v17
	v_add_f16_e32 v1, v8, v6
	v_fmamk_f16 v6, v46, 0xbb9c, v42
	v_fmac_f16_e32 v42, 0x3b9c, v46
	v_sub_f16_sdwa v2, v19, v17 dst_sel:DWORD dst_unused:UNUSED_PAD src0_sel:WORD_1 src1_sel:WORD_1
	v_sub_f16_sdwa v8, v13, v15 dst_sel:DWORD dst_unused:UNUSED_PAD src0_sel:WORD_1 src1_sel:WORD_1
	v_fmamk_f16 v10, v52, 0x3b9c, v38
	v_fmac_f16_e32 v23, 0x34f2, v62
	v_mul_f16_e32 v66, 0x3a79, v29
	v_mul_f16_e32 v69, 0xb8b4, v29
	v_add_f16_e32 v70, v57, v58
	v_fmac_f16_e32 v65, 0x38b4, v45
	v_fmac_f16_e32 v67, 0xb8b4, v68
	v_fmamk_f16 v77, v68, 0x3b9c, v40
	v_fmac_f16_e32 v40, 0xbb9c, v68
	v_fmac_f16_e32 v38, 0xbb9c, v52
	;; [unrolled: 1-line block ×3, first 2 shown]
	v_add_f16_e32 v2, v2, v8
	v_fmac_f16_e32 v10, 0xb8b4, v43
	v_fmac_f16_e32 v66, 0x38b4, v23
	;; [unrolled: 1-line block ×5, first 2 shown]
	v_pk_add_f16 v21, v21, v19
	v_mul_u32_u24_e32 v29, 10, v24
	v_fmac_f16_e32 v77, 0xb8b4, v61
	v_fmac_f16_e32 v40, 0x38b4, v61
	;; [unrolled: 1-line block ×8, first 2 shown]
	v_add_f16_e32 v22, v65, v66
	v_add_f16_e32 v23, v67, v69
	v_pk_add_f16 v21, v21, v13
	v_lshl_add_u32 v72, v29, 2, 0
	v_add_nc_u32_e32 v58, 0x600, v41
	v_add_nc_u32_e32 v29, 0x1c00, v41
	;; [unrolled: 1-line block ×3, first 2 shown]
	v_fmac_f16_e32 v77, 0x34f2, v4
	v_fmac_f16_e32 v38, 0x34f2, v2
	;; [unrolled: 1-line block ×3, first 2 shown]
	v_mul_f16_e32 v4, 0x34f2, v42
	v_fmac_f16_e32 v6, 0x34f2, v1
	v_fmac_f16_e32 v55, 0xb8b4, v46
	v_mul_f16_e32 v13, 0x3b9c, v10
	v_fmac_f16_e32 v59, 0x38b4, v52
	v_add_nc_u32_e32 v57, 0x1200, v41
	v_pack_b32_f16 v71, v22, v23
	v_pk_add_f16 v74, v21, v15
	v_add_nc_u32_e32 v53, 0x3400, v41
	ds_read2_b32 v[20:21], v58 offset0:96 offset1:216
	ds_read2_b32 v[22:23], v57 offset0:48 offset1:168
	v_mul_f16_e32 v8, 0x34f2, v38
	ds_read2_b32 v[1:2], v29 offset0:128 offset1:248
	v_fma_f16 v4, v38, 0x3b9c, -v4
	ds_read2_b32 v[37:38], v54 offset0:80 offset1:200
	v_fmac_f16_e32 v13, 0x34f2, v6
	v_mul_f16_e32 v6, 0xbb9c, v6
	v_fmac_f16_e32 v63, 0xbb9c, v44
	v_fmac_f16_e32 v56, 0x3b9c, v61
	;; [unrolled: 1-line block ×4, first 2 shown]
	v_fma_f16 v8, v42, 0xbb9c, -v8
	ds_read2_b32 v[42:43], v53 offset0:32 offset1:152
	v_fmac_f16_e32 v6, 0x34f2, v10
	v_fmac_f16_e32 v63, 0xb8b4, v45
	;; [unrolled: 1-line block ×3, first 2 shown]
	v_mul_f16_e32 v10, 0x3a79, v55
	v_mul_f16_e32 v17, 0x3a79, v59
	v_add_f16_e32 v19, v75, v4
	v_fmac_f16_e32 v63, 0x34f2, v64
	v_fmac_f16_e32 v56, 0x34f2, v70
	v_fma_f16 v10, v59, 0x38b4, -v10
	v_fma_f16 v17, v55, 0xb8b4, -v17
	v_add_f16_e32 v44, v40, v8
	v_sub_f16_e32 v4, v75, v4
	v_sub_f16_e32 v8, v40, v8
	v_pk_add_f16 v15, v73, v74
	v_add_f16_e32 v45, v76, v13
	v_add_f16_e32 v46, v77, v6
	v_add_f16_e32 v52, v63, v10
	v_add_f16_e32 v55, v56, v17
	v_pack_b32_f16 v4, v4, v8
	v_pk_add_f16 v8, v0, v16
	s_waitcnt lgkmcnt(0)
	s_barrier
	buffer_gl0_inv
	ds_write2_b32 v72, v15, v71 offset1:1
	v_pack_b32_f16 v15, v19, v44
	v_pack_b32_f16 v19, v45, v46
	;; [unrolled: 1-line block ×3, first 2 shown]
	v_sub_f16_e32 v46, v65, v66
	v_sub_f16_e32 v52, v67, v69
	v_sub_f16_e32 v10, v63, v10
	v_sub_f16_e32 v17, v56, v17
	v_pk_add_f16 v8, v8, v18
	v_add_f16_e32 v79, v1, v37
	v_sub_f16_e32 v13, v76, v13
	v_sub_f16_e32 v6, v77, v6
	v_pk_add_f16 v44, v73, v74 neg_lo:[0,1] neg_hi:[0,1]
	v_pack_b32_f16 v40, v46, v52
	v_pack_b32_f16 v10, v10, v17
	v_pk_add_f16 v8, v8, v12
	v_pk_add_f16 v52, v3, v9
	v_add_f16_sdwa v83, v1, v37 dst_sel:DWORD dst_unused:UNUSED_PAD src0_sel:WORD_1 src1_sel:WORD_1
	v_sub_f16_sdwa v89, v22, v42 dst_sel:DWORD dst_unused:UNUSED_PAD src0_sel:WORD_1 src1_sel:WORD_1
	v_lshrrev_b32_e32 v92, 16, v20
	v_fma_f16 v79, -0.5, v79, v20
	v_pack_b32_f16 v6, v13, v6
	ds_write2_b32 v72, v19, v15 offset0:2 offset1:3
	ds_write2_b32 v72, v45, v44 offset0:4 offset1:5
	;; [unrolled: 1-line block ×3, first 2 shown]
	v_add_f16_e32 v6, v18, v12
	ds_write2_b32 v72, v4, v10 offset0:8 offset1:9
	v_sub_f16_sdwa v4, v18, v12 dst_sel:DWORD dst_unused:UNUSED_PAD src0_sel:WORD_1 src1_sel:WORD_1
	v_sub_f16_e32 v10, v16, v18
	v_sub_f16_e32 v13, v18, v16
	v_add_f16_sdwa v15, v18, v12 dst_sel:DWORD dst_unused:UNUSED_PAD src0_sel:WORD_1 src1_sel:WORD_1
	v_sub_f16_e32 v17, v18, v12
	v_sub_f16_sdwa v19, v16, v18 dst_sel:DWORD dst_unused:UNUSED_PAD src0_sel:WORD_1 src1_sel:WORD_1
	v_sub_f16_sdwa v18, v18, v16 dst_sel:DWORD dst_unused:UNUSED_PAD src0_sel:WORD_1 src1_sel:WORD_1
	;; [unrolled: 1-line block ×3, first 2 shown]
	v_add_f16_e32 v44, v16, v14
	v_sub_f16_e32 v45, v16, v14
	v_add_f16_sdwa v16, v16, v14 dst_sel:DWORD dst_unused:UNUSED_PAD src0_sel:WORD_1 src1_sel:WORD_1
	v_sub_f16_e32 v46, v14, v12
	v_sub_f16_e32 v55, v12, v14
	v_sub_f16_sdwa v56, v14, v12 dst_sel:DWORD dst_unused:UNUSED_PAD src0_sel:WORD_1 src1_sel:WORD_1
	v_sub_f16_sdwa v12, v12, v14 dst_sel:DWORD dst_unused:UNUSED_PAD src0_sel:WORD_1 src1_sel:WORD_1
	v_pk_add_f16 v8, v8, v14
	v_pk_add_f16 v14, v52, v11
	v_sub_f16_sdwa v80, v1, v37 dst_sel:DWORD dst_unused:UNUSED_PAD src0_sel:WORD_1 src1_sel:WORD_1
	v_sub_f16_e32 v81, v22, v1
	v_sub_f16_e32 v91, v22, v42
	;; [unrolled: 1-line block ×3, first 2 shown]
	v_fma_f16 v83, -0.5, v83, v92
	v_fmamk_f16 v95, v89, 0x3b9c, v79
	v_pk_add_f16 v14, v14, v5
	v_pk_add_f16 v70, v21, v23
	v_sub_f16_e32 v84, v1, v37
	v_sub_f16_sdwa v85, v22, v1 dst_sel:DWORD dst_unused:UNUSED_PAD src0_sel:WORD_1 src1_sel:WORD_1
	v_sub_f16_sdwa v94, v42, v37 dst_sel:DWORD dst_unused:UNUSED_PAD src0_sel:WORD_1 src1_sel:WORD_1
	v_add_f16_e32 v81, v81, v93
	v_fmamk_f16 v93, v91, 0xbb9c, v83
	v_fmac_f16_e32 v95, 0x38b4, v80
	v_add_f16_e32 v52, v11, v5
	v_sub_f16_sdwa v59, v11, v5 dst_sel:DWORD dst_unused:UNUSED_PAD src0_sel:WORD_1 src1_sel:WORD_1
	v_sub_f16_e32 v60, v9, v11
	v_sub_f16_e32 v61, v11, v9
	v_add_f16_sdwa v62, v11, v5 dst_sel:DWORD dst_unused:UNUSED_PAD src0_sel:WORD_1 src1_sel:WORD_1
	v_sub_f16_e32 v63, v11, v5
	v_sub_f16_sdwa v64, v9, v11 dst_sel:DWORD dst_unused:UNUSED_PAD src0_sel:WORD_1 src1_sel:WORD_1
	v_sub_f16_sdwa v11, v11, v9 dst_sel:DWORD dst_unused:UNUSED_PAD src0_sel:WORD_1 src1_sel:WORD_1
	;; [unrolled: 1-line block ×3, first 2 shown]
	v_add_f16_e32 v66, v9, v7
	v_sub_f16_e32 v67, v9, v7
	v_add_f16_sdwa v9, v9, v7 dst_sel:DWORD dst_unused:UNUSED_PAD src0_sel:WORD_1 src1_sel:WORD_1
	v_sub_f16_e32 v68, v7, v5
	v_sub_f16_e32 v69, v5, v7
	v_sub_f16_sdwa v72, v7, v5 dst_sel:DWORD dst_unused:UNUSED_PAD src0_sel:WORD_1 src1_sel:WORD_1
	v_sub_f16_sdwa v5, v5, v7 dst_sel:DWORD dst_unused:UNUSED_PAD src0_sel:WORD_1 src1_sel:WORD_1
	v_pk_add_f16 v7, v14, v7
	v_pk_add_f16 v14, v70, v2
	v_add_f16_e32 v85, v85, v94
	v_fmac_f16_e32 v93, 0xb8b4, v84
	v_fmac_f16_e32 v95, 0x34f2, v81
	v_pk_add_f16 v71, v20, v22
	v_pk_add_f16 v14, v14, v38
	v_fma_f16 v6, -0.5, v6, v0
	v_fmac_f16_e32 v93, 0x34f2, v85
	v_mul_f16_e32 v96, 0x3a79, v95
	v_mul_f16_e32 v95, 0xb8b4, v95
	v_pk_add_f16 v70, v71, v1
	v_add_f16_e32 v71, v2, v38
	v_sub_f16_sdwa v73, v2, v38 dst_sel:DWORD dst_unused:UNUSED_PAD src0_sel:WORD_1 src1_sel:WORD_1
	v_sub_f16_e32 v74, v23, v2
	v_sub_f16_e32 v75, v2, v23
	v_add_f16_sdwa v76, v2, v38 dst_sel:DWORD dst_unused:UNUSED_PAD src0_sel:WORD_1 src1_sel:WORD_1
	v_sub_f16_e32 v77, v2, v38
	v_sub_f16_sdwa v78, v23, v2 dst_sel:DWORD dst_unused:UNUSED_PAD src0_sel:WORD_1 src1_sel:WORD_1
	v_sub_f16_sdwa v2, v2, v23 dst_sel:DWORD dst_unused:UNUSED_PAD src0_sel:WORD_1 src1_sel:WORD_1
	;; [unrolled: 1-line block ×3, first 2 shown]
	v_add_f16_e32 v87, v23, v43
	v_sub_f16_e32 v88, v23, v43
	v_add_f16_sdwa v23, v23, v43 dst_sel:DWORD dst_unused:UNUSED_PAD src0_sel:WORD_1 src1_sel:WORD_1
	v_sub_f16_e32 v97, v43, v38
	v_fmac_f16_e32 v96, 0x38b4, v93
	v_fmac_f16_e32 v95, 0x3a79, v93
	v_sub_f16_e32 v93, v38, v43
	v_sub_f16_sdwa v98, v43, v38 dst_sel:DWORD dst_unused:UNUSED_PAD src0_sel:WORD_1 src1_sel:WORD_1
	v_sub_f16_sdwa v38, v38, v43 dst_sel:DWORD dst_unused:UNUSED_PAD src0_sel:WORD_1 src1_sel:WORD_1
	v_pk_add_f16 v14, v14, v43
	v_fmamk_f16 v43, v40, 0x3b9c, v6
	v_fmac_f16_e32 v6, 0xbb9c, v40
	v_fma_f16 v44, -0.5, v44, v0
	v_lshrrev_b32_e32 v0, 16, v0
	v_add_f16_e32 v10, v10, v46
	v_fmac_f16_e32 v43, 0x38b4, v4
	v_fmac_f16_e32 v6, 0xb8b4, v4
	v_fmamk_f16 v46, v4, 0xbb9c, v44
	v_fmac_f16_e32 v44, 0x3b9c, v4
	v_fma_f16 v4, -0.5, v15, v0
	v_fmac_f16_e32 v0, -0.5, v16
	v_fmac_f16_e32 v43, 0x34f2, v10
	v_fmac_f16_e32 v6, 0x34f2, v10
	v_add_f16_e32 v10, v13, v55
	v_fmac_f16_e32 v46, 0x38b4, v40
	v_fmac_f16_e32 v44, 0xb8b4, v40
	v_fmamk_f16 v16, v17, 0x3b9c, v0
	v_fmac_f16_e32 v0, 0xbb9c, v17
	v_fmamk_f16 v13, v45, 0xbb9c, v4
	v_fmac_f16_e32 v4, 0x3b9c, v45
	v_add_f16_e32 v12, v18, v12
	v_fmac_f16_e32 v16, 0xb8b4, v45
	v_fmac_f16_e32 v0, 0x38b4, v45
	;; [unrolled: 1-line block ×4, first 2 shown]
	v_fma_f16 v10, -0.5, v71, v21
	v_add_f16_e32 v15, v19, v56
	v_fmac_f16_e32 v13, 0xb8b4, v17
	v_fmac_f16_e32 v4, 0x38b4, v17
	;; [unrolled: 1-line block ×4, first 2 shown]
	v_fmamk_f16 v12, v86, 0x3b9c, v10
	v_fmac_f16_e32 v10, 0xbb9c, v86
	v_fmac_f16_e32 v13, 0x34f2, v15
	;; [unrolled: 1-line block ×3, first 2 shown]
	v_add_f16_e32 v15, v74, v97
	v_fmac_f16_e32 v12, 0x38b4, v73
	v_fmac_f16_e32 v10, 0xb8b4, v73
	v_lshrrev_b32_e32 v19, 16, v21
	v_add_f16_e32 v90, v22, v42
	v_fma_f16 v17, -0.5, v87, v21
	v_fmac_f16_e32 v12, 0x34f2, v15
	v_fmac_f16_e32 v10, 0x34f2, v15
	v_fma_f16 v15, -0.5, v76, v19
	v_fmac_f16_e32 v19, -0.5, v23
	v_fma_f16 v18, -0.5, v90, v20
	v_fmamk_f16 v20, v73, 0xbb9c, v17
	v_fmac_f16_e32 v17, 0x3b9c, v73
	v_fmamk_f16 v45, v88, 0xbb9c, v15
	v_fmamk_f16 v40, v77, 0x3b9c, v19
	v_fmac_f16_e32 v19, 0xbb9c, v77
	v_add_f16_e32 v2, v2, v38
	v_add_f16_e32 v21, v75, v93
	v_fmac_f16_e32 v20, 0x38b4, v86
	v_fmac_f16_e32 v40, 0xb8b4, v88
	;; [unrolled: 1-line block ×3, first 2 shown]
	v_add_f16_e32 v23, v78, v98
	v_fmac_f16_e32 v15, 0x3b9c, v88
	v_fmac_f16_e32 v45, 0xb8b4, v77
	;; [unrolled: 1-line block ×8, first 2 shown]
	v_mul_f16_e32 v21, 0x3a79, v12
	v_mul_f16_e32 v12, 0xb8b4, v12
	;; [unrolled: 1-line block ×3, first 2 shown]
	v_fmac_f16_e32 v19, 0x34f2, v2
	v_fmac_f16_e32 v15, 0x34f2, v23
	;; [unrolled: 1-line block ×5, first 2 shown]
	v_mul_f16_e32 v2, 0xbb9c, v20
	v_mul_f16_e32 v20, 0x34f2, v17
	;; [unrolled: 1-line block ×4, first 2 shown]
	v_sub_f16_e32 v82, v1, v22
	v_sub_f16_sdwa v1, v1, v22 dst_sel:DWORD dst_unused:UNUSED_PAD src0_sel:WORD_1 src1_sel:WORD_1
	v_add_f16_sdwa v22, v22, v42 dst_sel:DWORD dst_unused:UNUSED_PAD src0_sel:WORD_1 src1_sel:WORD_1
	v_add_f16_e32 v60, v60, v68
	v_lshrrev_b32_e32 v68, 16, v3
	v_fma_f16 v52, -0.5, v52, v3
	v_fma_f16 v3, -0.5, v66, v3
	v_mul_f16_e32 v55, 0x3a79, v15
	v_fmac_f16_e32 v2, 0x34f2, v40
	v_fma_f16 v19, v19, 0x3b9c, -v20
	v_fma_f16 v17, v17, 0xbb9c, -v23
	;; [unrolled: 1-line block ×3, first 2 shown]
	v_fmac_f16_e32 v92, -0.5, v22
	v_pk_add_f16 v70, v70, v37
	v_add_f16_e32 v40, v44, v19
	v_sub_f16_e32 v19, v44, v19
	v_add_f16_e32 v44, v6, v15
	v_sub_f16_e32 v6, v6, v15
	;; [unrolled: 2-line block ×5, first 2 shown]
	v_fmamk_f16 v17, v59, 0xbb9c, v3
	v_fmac_f16_e32 v3, 0x3b9c, v59
	v_fma_f16 v62, -0.5, v62, v68
	v_sub_f16_e32 v101, v37, v42
	v_sub_f16_sdwa v37, v37, v42 dst_sel:DWORD dst_unused:UNUSED_PAD src0_sel:WORD_1 src1_sel:WORD_1
	v_fma_f16 v10, v10, 0xb8b4, -v55
	v_fmac_f16_e32 v68, -0.5, v9
	v_add_f16_e32 v9, v61, v69
	v_fmac_f16_e32 v17, 0x38b4, v65
	v_fmac_f16_e32 v3, 0xb8b4, v65
	v_add_f16_e32 v5, v11, v5
	v_fmamk_f16 v11, v84, 0x3b9c, v92
	v_add_f16_e32 v45, v4, v10
	v_sub_f16_e32 v4, v4, v10
	v_fmamk_f16 v10, v63, 0x3b9c, v68
	v_fmac_f16_e32 v68, 0xbb9c, v63
	v_fmac_f16_e32 v17, 0x34f2, v9
	;; [unrolled: 1-line block ×3, first 2 shown]
	v_fmamk_f16 v9, v80, 0xbb9c, v18
	v_fmac_f16_e32 v18, 0x3b9c, v80
	v_add_f16_e32 v1, v1, v37
	v_fmac_f16_e32 v11, 0xb8b4, v91
	v_fmac_f16_e32 v92, 0xbb9c, v84
	v_fmac_f16_e32 v10, 0xb8b4, v67
	v_fmac_f16_e32 v68, 0x38b4, v67
	v_add_f16_e32 v22, v82, v101
	v_fmac_f16_e32 v9, 0x38b4, v89
	v_fmac_f16_e32 v18, 0xb8b4, v89
	;; [unrolled: 1-line block ×10, first 2 shown]
	v_mul_f16_e32 v5, 0x3b9c, v11
	v_fmac_f16_e32 v18, 0x34f2, v22
	v_fmac_f16_e32 v92, 0x34f2, v1
	;; [unrolled: 1-line block ×5, first 2 shown]
	v_mul_f16_e32 v1, 0xbb9c, v9
	v_mul_f16_e32 v9, 0x34f2, v18
	;; [unrolled: 1-line block ×3, first 2 shown]
	v_add_f16_e32 v64, v64, v72
	v_fmamk_f16 v72, v65, 0x3b9c, v52
	v_fmamk_f16 v94, v67, 0xbb9c, v62
	v_add_f16_e32 v20, v43, v21
	v_sub_f16_e32 v21, v43, v21
	v_fmac_f16_e32 v52, 0xbb9c, v65
	v_fmac_f16_e32 v62, 0x3b9c, v67
	;; [unrolled: 1-line block ×3, first 2 shown]
	v_mul_f16_e32 v43, 0x3a79, v83
	v_fmac_f16_e32 v1, 0x34f2, v11
	v_fma_f16 v9, v92, 0x3b9c, -v9
	v_fma_f16 v11, v18, 0xbb9c, -v22
	v_add_f16_e32 v23, v46, v38
	v_sub_f16_e32 v38, v46, v38
	v_fmac_f16_e32 v52, 0xb8b4, v59
	v_fmac_f16_e32 v62, 0x38b4, v63
	v_mul_f16_e32 v37, 0x3a79, v79
	v_fma_f16 v22, v79, 0xb8b4, -v43
	v_add_f16_e32 v43, v17, v5
	v_sub_f16_e32 v5, v17, v5
	v_add_f16_e32 v17, v3, v9
	v_add_f16_e32 v46, v68, v11
	;; [unrolled: 1-line block ×3, first 2 shown]
	v_fmac_f16_e32 v72, 0x38b4, v59
	v_fmac_f16_e32 v94, 0xb8b4, v63
	v_pk_add_f16 v70, v70, v42
	v_lshl_add_u32 v42, v102, 2, 0
	v_fmac_f16_e32 v52, 0x34f2, v60
	v_fmac_f16_e32 v62, 0x34f2, v64
	v_fma_f16 v18, v83, 0x38b4, -v37
	v_pack_b32_f16 v17, v17, v46
	v_pack_b32_f16 v46, v43, v55
	v_fmac_f16_e32 v72, 0x34f2, v60
	v_fmac_f16_e32 v94, 0x34f2, v64
	v_sub_f16_e32 v3, v3, v9
	v_add_f16_e32 v9, v52, v18
	v_sub_f16_e32 v1, v10, v1
	v_sub_f16_e32 v10, v68, v11
	v_add_f16_e32 v11, v62, v22
	ds_write2_b32 v42, v46, v17 offset0:2 offset1:3
	v_and_b32_e32 v17, 0xff, v24
	v_add_f16_e32 v99, v72, v96
	v_add_f16_e32 v100, v94, v95
	v_pack_b32_f16 v9, v9, v11
	v_sub_f16_e32 v37, v72, v96
	v_mul_lo_u16 v11, 0xcd, v17
	v_sub_f16_e32 v56, v94, v95
	v_sub_f16_e32 v18, v52, v18
	;; [unrolled: 1-line block ×3, first 2 shown]
	v_pack_b32_f16 v99, v99, v100
	v_pk_add_f16 v100, v7, v70
	v_mul_i32_i24_e32 v52, 10, v34
	v_pk_add_f16 v7, v7, v70 neg_lo:[0,1] neg_hi:[0,1]
	v_lshrrev_b16 v61, 11, v11
	v_pack_b32_f16 v17, v37, v56
	v_pack_b32_f16 v1, v5, v1
	;; [unrolled: 1-line block ×4, first 2 shown]
	ds_write2_b32 v42, v100, v99 offset1:1
	v_lshl_add_u32 v43, v52, 2, 0
	ds_write2_b32 v42, v9, v7 offset0:4 offset1:5
	ds_write2_b32 v42, v17, v1 offset0:6 offset1:7
	;; [unrolled: 1-line block ×3, first 2 shown]
	v_mul_lo_u16 v1, v61, 10
	v_pack_b32_f16 v3, v40, v16
	v_pack_b32_f16 v5, v23, v13
	v_and_b32_e32 v52, 0xff, v28
	v_pk_add_f16 v46, v8, v14
	v_pk_add_f16 v7, v8, v14 neg_lo:[0,1] neg_hi:[0,1]
	v_sub_nc_u16 v62, v24, v1
	v_mov_b32_e32 v8, 9
	ds_write2_b32 v43, v5, v3 offset0:2 offset1:3
	v_mul_lo_u16 v3, 0xcd, v52
	v_pack_b32_f16 v10, v20, v15
	v_pack_b32_f16 v1, v44, v45
	;; [unrolled: 1-line block ×3, first 2 shown]
	v_mul_u32_u24_sdwa v6, v62, v8 dst_sel:DWORD dst_unused:UNUSED_PAD src0_sel:BYTE_0 src1_sel:DWORD
	v_pack_b32_f16 v0, v19, v0
	v_lshrrev_b16 v55, 11, v3
	v_pack_b32_f16 v9, v21, v12
	v_pack_b32_f16 v2, v38, v2
	ds_write2_b32 v43, v46, v10 offset1:1
	ds_write2_b32 v43, v1, v7 offset0:4 offset1:5
	ds_write2_b32 v43, v9, v2 offset0:6 offset1:7
	v_lshlrev_b32_e32 v37, 2, v6
	ds_write2_b32 v43, v0, v4 offset0:8 offset1:9
	v_mul_lo_u16 v4, v55, 10
	s_waitcnt lgkmcnt(0)
	s_barrier
	buffer_gl0_inv
	global_load_dwordx4 v[0:3], v37, s[12:13]
	v_sub_nc_u16 v56, v28, v4
	v_mov_b32_e32 v4, 0xcccd
	v_lshl_add_u32 v44, v33, 2, 0
	v_mad_i32_i24 v46, 0xffffffdc, v28, v42
	v_mad_i32_i24 v45, 0xffffffdc, v34, v43
	v_mul_u32_u24_sdwa v5, v56, v8 dst_sel:DWORD dst_unused:UNUSED_PAD src0_sel:BYTE_0 src1_sel:DWORD
	v_mul_u32_u24_sdwa v4, v34, v4 dst_sel:DWORD dst_unused:UNUSED_PAD src0_sel:WORD_0 src1_sel:DWORD
	v_lshlrev_b32_e32 v64, 2, v5
	v_lshrrev_b32_e32 v59, 19, v4
	global_load_dwordx4 v[16:19], v64, s[12:13]
	v_mul_lo_u16 v4, v59, 10
	v_sub_nc_u16 v60, v34, v4
	v_mul_u32_u24_sdwa v4, v60, v8 dst_sel:DWORD dst_unused:UNUSED_PAD src0_sel:WORD_0 src1_sel:DWORD
	v_lshlrev_b32_e32 v65, 2, v4
	s_clause 0x4
	global_load_dwordx4 v[12:15], v65, s[12:13]
	global_load_dwordx4 v[4:7], v37, s[12:13] offset:16
	global_load_dwordx4 v[20:23], v64, s[12:13] offset:16
	;; [unrolled: 1-line block ×3, first 2 shown]
	global_load_dword v63, v37, s[12:13] offset:32
	ds_read_b32 v67, v44
	ds_read2_b32 v[37:38], v36 offset0:80 offset1:200
	ds_read2_b32 v[35:36], v35 offset0:64 offset1:184
	;; [unrolled: 1-line block ×3, first 2 shown]
	ds_read_b32 v68, v46
	ds_read_b32 v66, v45
	;; [unrolled: 1-line block ×3, first 2 shown]
	s_clause 0x1
	global_load_dword v71, v64, s[12:13] offset:32
	global_load_dword v75, v65, s[12:13] offset:32
	s_waitcnt lgkmcnt(6)
	v_lshrrev_b32_e32 v70, 16, v67
	s_waitcnt lgkmcnt(5)
	v_lshrrev_b32_e32 v72, 16, v37
	;; [unrolled: 2-line block ×4, first 2 shown]
	v_lshrrev_b32_e32 v80, 16, v40
	v_lshrrev_b32_e32 v85, 16, v35
	s_waitcnt vmcnt(8)
	v_mul_f16_sdwa v64, v0, v70 dst_sel:DWORD dst_unused:UNUSED_PAD src0_sel:WORD_1 src1_sel:DWORD
	v_mul_f16_sdwa v73, v0, v67 dst_sel:DWORD dst_unused:UNUSED_PAD src0_sel:WORD_1 src1_sel:DWORD
	v_mul_f16_sdwa v77, v37, v1 dst_sel:DWORD dst_unused:UNUSED_PAD src0_sel:DWORD src1_sel:WORD_1
	v_mul_f16_sdwa v79, v39, v3 dst_sel:DWORD dst_unused:UNUSED_PAD src0_sel:DWORD src1_sel:WORD_1
	;; [unrolled: 1-line block ×3, first 2 shown]
	v_fma_f16 v67, v0, v67, -v64
	v_fmac_f16_e32 v73, v0, v70
	v_mul_f16_sdwa v70, v36, v2 dst_sel:DWORD dst_unused:UNUSED_PAD src0_sel:DWORD src1_sel:WORD_1
	ds_read2_b32 v[64:65], v58 offset0:96 offset1:216
	ds_read2_b32 v[57:58], v57 offset0:48 offset1:168
	v_mul_f16_sdwa v0, v72, v1 dst_sel:DWORD dst_unused:UNUSED_PAD src0_sel:DWORD src1_sel:WORD_1
	v_fmac_f16_e32 v77, v72, v1
	v_mul_f16_sdwa v72, v74, v2 dst_sel:DWORD dst_unused:UNUSED_PAD src0_sel:DWORD src1_sel:WORD_1
	v_fmac_f16_e32 v70, v74, v2
	v_lshrrev_b32_e32 v74, 16, v38
	v_fma_f16 v81, v37, v1, -v0
	s_waitcnt vmcnt(7)
	v_mul_f16_sdwa v1, v80, v19 dst_sel:DWORD dst_unused:UNUSED_PAD src0_sel:DWORD src1_sel:WORD_1
	v_fmac_f16_e32 v79, v76, v3
	v_mul_f16_sdwa v82, v38, v17 dst_sel:DWORD dst_unused:UNUSED_PAD src0_sel:DWORD src1_sel:WORD_1
	v_mul_f16_sdwa v0, v74, v17 dst_sel:DWORD dst_unused:UNUSED_PAD src0_sel:DWORD src1_sel:WORD_1
	v_fma_f16 v72, v36, v2, -v72
	v_fma_f16 v78, v39, v3, -v78
	v_mul_f16_sdwa v83, v40, v19 dst_sel:DWORD dst_unused:UNUSED_PAD src0_sel:DWORD src1_sel:WORD_1
	v_fma_f16 v84, v40, v19, -v1
	v_fma_f16 v76, v38, v17, -v0
	ds_read2_b32 v[37:38], v49 offset0:16 offset1:136
	v_fmac_f16_e32 v82, v74, v17
	ds_read2_b32 v[39:40], v51 offset0:112 offset1:232
	s_waitcnt lgkmcnt(3)
	v_lshrrev_b32_e32 v0, 16, v64
	v_mul_f16_sdwa v36, v64, v16 dst_sel:DWORD dst_unused:UNUSED_PAD src0_sel:DWORD src1_sel:WORD_1
	s_waitcnt lgkmcnt(2)
	v_lshrrev_b32_e32 v1, 16, v57
	v_mul_f16_sdwa v74, v57, v18 dst_sel:DWORD dst_unused:UNUSED_PAD src0_sel:DWORD src1_sel:WORD_1
	v_fmac_f16_e32 v83, v80, v19
	v_lshrrev_b32_e32 v80, 16, v65
	v_fmac_f16_e32 v36, v0, v16
	v_mul_f16_sdwa v0, v0, v16 dst_sel:DWORD dst_unused:UNUSED_PAD src0_sel:DWORD src1_sel:WORD_1
	v_fmac_f16_e32 v74, v1, v18
	v_mul_f16_sdwa v1, v1, v18 dst_sel:DWORD dst_unused:UNUSED_PAD src0_sel:DWORD src1_sel:WORD_1
	ds_read2_b32 v[48:49], v48 offset0:96 offset1:216
	s_waitcnt vmcnt(6)
	v_mul_f16_sdwa v2, v85, v13 dst_sel:DWORD dst_unused:UNUSED_PAD src0_sel:DWORD src1_sel:WORD_1
	v_fma_f16 v19, v64, v16, -v0
	v_mul_f16_sdwa v0, v80, v12 dst_sel:DWORD dst_unused:UNUSED_PAD src0_sel:DWORD src1_sel:WORD_1
	v_lshrrev_b32_e32 v64, 16, v58
	v_fma_f16 v86, v57, v18, -v1
	v_mul_f16_sdwa v1, v65, v12 dst_sel:DWORD dst_unused:UNUSED_PAD src0_sel:DWORD src1_sel:WORD_1
	v_fma_f16 v17, v35, v13, -v2
	v_fma_f16 v0, v65, v12, -v0
	v_mul_f16_sdwa v3, v64, v14 dst_sel:DWORD dst_unused:UNUSED_PAD src0_sel:DWORD src1_sel:WORD_1
	v_mul_f16_sdwa v16, v35, v13 dst_sel:DWORD dst_unused:UNUSED_PAD src0_sel:DWORD src1_sel:WORD_1
	ds_read2_b32 v[50:51], v50 offset0:64 offset1:184
	v_mul_f16_sdwa v2, v58, v14 dst_sel:DWORD dst_unused:UNUSED_PAD src0_sel:DWORD src1_sel:WORD_1
	v_fmac_f16_e32 v1, v80, v12
	s_waitcnt lgkmcnt(3)
	v_lshrrev_b32_e32 v12, 16, v37
	v_lshrrev_b32_e32 v18, 16, v38
	v_fma_f16 v3, v58, v14, -v3
	v_fmac_f16_e32 v16, v85, v13
	v_fmac_f16_e32 v2, v64, v14
	v_mul_f16_sdwa v13, v37, v15 dst_sel:DWORD dst_unused:UNUSED_PAD src0_sel:DWORD src1_sel:WORD_1
	v_mul_f16_sdwa v14, v12, v15 dst_sel:DWORD dst_unused:UNUSED_PAD src0_sel:DWORD src1_sel:WORD_1
	s_waitcnt vmcnt(5)
	v_mul_f16_sdwa v35, v18, v4 dst_sel:DWORD dst_unused:UNUSED_PAD src0_sel:DWORD src1_sel:WORD_1
	v_mul_f16_sdwa v64, v38, v4 dst_sel:DWORD dst_unused:UNUSED_PAD src0_sel:DWORD src1_sel:WORD_1
	s_waitcnt lgkmcnt(2)
	v_lshrrev_b32_e32 v57, 16, v39
	v_mul_f16_sdwa v65, v39, v5 dst_sel:DWORD dst_unused:UNUSED_PAD src0_sel:DWORD src1_sel:WORD_1
	v_fmac_f16_e32 v13, v12, v15
	v_fma_f16 v14, v37, v15, -v14
	v_fma_f16 v35, v38, v4, -v35
	v_fmac_f16_e32 v64, v18, v4
	v_fmac_f16_e32 v65, v57, v5
	s_waitcnt lgkmcnt(1)
	v_lshrrev_b32_e32 v4, 16, v49
	v_mul_f16_sdwa v80, v49, v6 dst_sel:DWORD dst_unused:UNUSED_PAD src0_sel:DWORD src1_sel:WORD_1
	ds_read2_b32 v[37:38], v29 offset0:128 offset1:248
	v_mul_f16_sdwa v15, v57, v5 dst_sel:DWORD dst_unused:UNUSED_PAD src0_sel:DWORD src1_sel:WORD_1
	ds_read2_b32 v[57:58], v54 offset0:80 offset1:200
	v_lshrrev_b32_e32 v18, 16, v40
	v_fmac_f16_e32 v80, v4, v6
	v_mul_f16_sdwa v4, v4, v6 dst_sel:DWORD dst_unused:UNUSED_PAD src0_sel:DWORD src1_sel:WORD_1
	s_waitcnt lgkmcnt(2)
	v_lshrrev_b32_e32 v54, 16, v51
	v_fma_f16 v87, v39, v5, -v15
	s_waitcnt vmcnt(4)
	v_mul_f16_sdwa v88, v40, v21 dst_sel:DWORD dst_unused:UNUSED_PAD src0_sel:DWORD src1_sel:WORD_1
	v_lshrrev_b32_e32 v12, 16, v50
	v_fma_f16 v49, v49, v6, -v4
	v_mul_f16_sdwa v4, v18, v21 dst_sel:DWORD dst_unused:UNUSED_PAD src0_sel:DWORD src1_sel:WORD_1
	v_mul_f16_sdwa v5, v54, v23 dst_sel:DWORD dst_unused:UNUSED_PAD src0_sel:DWORD src1_sel:WORD_1
	;; [unrolled: 1-line block ×4, first 2 shown]
	v_fmac_f16_e32 v88, v18, v21
	v_fma_f16 v90, v40, v21, -v4
	ds_read2_b32 v[39:40], v47 offset0:48 offset1:168
	v_fma_f16 v51, v51, v23, -v5
	v_fmac_f16_e32 v85, v12, v7
	s_waitcnt lgkmcnt(2)
	v_lshrrev_b32_e32 v4, 16, v37
	v_mul_f16_sdwa v21, v37, v20 dst_sel:DWORD dst_unused:UNUSED_PAD src0_sel:DWORD src1_sel:WORD_1
	s_waitcnt lgkmcnt(1)
	v_lshrrev_b32_e32 v5, 16, v57
	v_mul_f16_sdwa v12, v12, v7 dst_sel:DWORD dst_unused:UNUSED_PAD src0_sel:DWORD src1_sel:WORD_1
	v_fmac_f16_e32 v89, v54, v23
	v_mul_f16_sdwa v6, v4, v20 dst_sel:DWORD dst_unused:UNUSED_PAD src0_sel:DWORD src1_sel:WORD_1
	v_fmac_f16_e32 v21, v4, v20
	v_mul_f16_sdwa v4, v5, v22 dst_sel:DWORD dst_unused:UNUSED_PAD src0_sel:DWORD src1_sel:WORD_1
	v_lshrrev_b32_e32 v54, 16, v48
	v_lshrrev_b32_e32 v91, 16, v58
	v_fma_f16 v50, v50, v7, -v12
	v_fma_f16 v20, v37, v20, -v6
	;; [unrolled: 1-line block ×3, first 2 shown]
	s_waitcnt vmcnt(3)
	v_mul_f16_sdwa v12, v54, v9 dst_sel:DWORD dst_unused:UNUSED_PAD src0_sel:DWORD src1_sel:WORD_1
	v_mul_f16_sdwa v4, v91, v10 dst_sel:DWORD dst_unused:UNUSED_PAD src0_sel:DWORD src1_sel:WORD_1
	;; [unrolled: 1-line block ×3, first 2 shown]
	v_lshrrev_b32_e32 v47, 16, v38
	v_mul_f16_sdwa v6, v38, v8 dst_sel:DWORD dst_unused:UNUSED_PAD src0_sel:DWORD src1_sel:WORD_1
	v_fma_f16 v18, v48, v9, -v12
	v_fma_f16 v12, v58, v10, -v4
	s_waitcnt lgkmcnt(0)
	v_lshrrev_b32_e32 v4, 16, v40
	v_fmac_f16_e32 v23, v5, v22
	v_mul_f16_sdwa v5, v47, v8 dst_sel:DWORD dst_unused:UNUSED_PAD src0_sel:DWORD src1_sel:WORD_1
	v_mul_f16_sdwa v15, v48, v9 dst_sel:DWORD dst_unused:UNUSED_PAD src0_sel:DWORD src1_sel:WORD_1
	v_fmac_f16_e32 v6, v47, v8
	s_waitcnt vmcnt(2)
	v_mul_f16_sdwa v47, v4, v63 dst_sel:DWORD dst_unused:UNUSED_PAD src0_sel:DWORD src1_sel:WORD_1
	v_mul_f16_sdwa v48, v40, v63 dst_sel:DWORD dst_unused:UNUSED_PAD src0_sel:DWORD src1_sel:WORD_1
	v_fma_f16 v7, v38, v8, -v5
	v_fmac_f16_e32 v15, v54, v9
	v_add_f16_e32 v9, v64, v80
	v_fma_f16 v40, v40, v63, -v47
	v_mul_f16_sdwa v5, v58, v10 dst_sel:DWORD dst_unused:UNUSED_PAD src0_sel:DWORD src1_sel:WORD_1
	v_fmac_f16_e32 v48, v4, v63
	v_add_f16_e32 v4, v35, v49
	v_fma_f16 v47, -0.5, v9, v73
	v_sub_f16_e32 v54, v72, v40
	v_fmac_f16_e32 v5, v91, v10
	v_sub_f16_e32 v9, v70, v64
	v_fma_f16 v57, -0.5, v4, v67
	v_sub_f16_e32 v58, v70, v48
	v_sub_f16_e32 v4, v48, v80
	v_fmamk_f16 v63, v54, 0xbb9c, v47
	v_sub_f16_e32 v91, v35, v49
	v_sub_f16_e32 v10, v72, v35
	;; [unrolled: 1-line block ×3, first 2 shown]
	v_fmamk_f16 v93, v58, 0x3b9c, v57
	v_sub_f16_e32 v94, v64, v80
	v_add_f16_e32 v95, v9, v4
	v_fmac_f16_e32 v63, 0xb8b4, v91
	v_lshrrev_b32_e32 v22, 16, v39
	v_add_f16_e32 v92, v10, v92
	v_fmac_f16_e32 v93, 0x38b4, v94
	v_mul_f16_sdwa v8, v39, v11 dst_sel:DWORD dst_unused:UNUSED_PAD src0_sel:DWORD src1_sel:WORD_1
	v_fmac_f16_e32 v63, 0x34f2, v95
	v_mul_f16_sdwa v38, v22, v11 dst_sel:DWORD dst_unused:UNUSED_PAD src0_sel:DWORD src1_sel:WORD_1
	v_sub_f16_e32 v4, v81, v78
	v_sub_f16_e32 v10, v50, v87
	v_fmac_f16_e32 v93, 0x34f2, v92
	v_mul_f16_e32 v97, 0x38b4, v63
	v_fmac_f16_e32 v8, v22, v11
	v_fma_f16 v9, v39, v11, -v38
	v_add_f16_e32 v38, v4, v10
	v_add_f16_e32 v10, v69, v81
	;; [unrolled: 1-line block ×3, first 2 shown]
	v_mul_f16_e32 v39, 0xb8b4, v93
	v_fmac_f16_e32 v97, 0x3a79, v93
	v_lshrrev_b32_e32 v93, 16, v69
	v_add_f16_e32 v10, v10, v78
	v_add_f16_e32 v11, v11, v35
	v_fmac_f16_e32 v39, 0x3a79, v63
	v_add_f16_e32 v98, v73, v70
	v_add_f16_e32 v63, v93, v77
	v_sub_f16_e32 v22, v77, v79
	v_sub_f16_e32 v96, v85, v65
	v_add_f16_e32 v10, v10, v87
	v_add_f16_e32 v11, v11, v49
	v_add_f16_e32 v63, v63, v79
	v_add_f16_e32 v98, v98, v64
	v_add_f16_e32 v96, v22, v96
	v_mov_b32_e32 v4, 0x190
	v_mov_b32_e32 v22, 2
	v_add_f16_e32 v99, v10, v50
	v_add_f16_e32 v100, v11, v40
	;; [unrolled: 1-line block ×6, first 2 shown]
	v_mul_u32_u24_sdwa v61, v61, v4 dst_sel:DWORD dst_unused:UNUSED_PAD src0_sel:WORD_0 src1_sel:DWORD
	v_lshlrev_b32_sdwa v62, v22, v62 dst_sel:DWORD dst_unused:UNUSED_PAD src0_sel:DWORD src1_sel:BYTE_0
	v_fma_f16 v102, -0.5, v10, v69
	v_sub_f16_e32 v103, v77, v85
	v_fma_f16 v104, -0.5, v11, v93
	v_sub_f16_e32 v105, v81, v50
	v_add_f16_e32 v63, v63, v85
	v_add_f16_e32 v98, v98, v48
	;; [unrolled: 1-line block ×3, first 2 shown]
	v_add3_u32 v61, 0, v61, v62
	v_fmamk_f16 v62, v103, 0x3b9c, v102
	v_sub_f16_e32 v106, v79, v65
	v_fmamk_f16 v107, v105, 0xbb9c, v104
	v_sub_f16_e32 v108, v78, v87
	v_add_f16_e32 v101, v99, v100
	v_add_f16_e32 v10, v63, v98
	v_fmac_f16_e32 v69, -0.5, v11
	v_fmac_f16_e32 v62, 0x38b4, v106
	v_fmac_f16_e32 v107, 0xb8b4, v108
	v_sub_f16_e32 v50, v87, v50
	v_pack_b32_f16 v101, v101, v10
	v_sub_f16_e32 v10, v78, v81
	v_fmamk_f16 v81, v106, 0xbb9c, v69
	v_fmac_f16_e32 v69, 0x3b9c, v106
	v_fmac_f16_e32 v62, 0x34f2, v38
	;; [unrolled: 1-line block ×3, first 2 shown]
	v_add_f16_e32 v50, v10, v50
	v_sub_f16_e32 v79, v79, v77
	v_fmac_f16_e32 v81, 0x38b4, v103
	v_fmac_f16_e32 v69, 0xb8b4, v103
	v_sub_f16_e32 v65, v65, v85
	v_add_f16_e32 v78, v62, v97
	v_add_f16_e32 v11, v107, v39
	v_fmac_f16_e32 v81, 0x34f2, v50
	v_fmac_f16_e32 v69, 0x34f2, v50
	v_add_f16_e32 v50, v79, v65
	v_add_f16_e32 v65, v72, v40
	v_pack_b32_f16 v78, v78, v11
	ds_read2_b32 v[10:11], v53 offset0:32 offset1:152
	v_add_f16_e32 v53, v70, v48
	v_sub_f16_e32 v35, v35, v72
	v_fmac_f16_e32 v67, -0.5, v65
	v_sub_f16_e32 v40, v49, v40
	v_sub_f16_e32 v49, v64, v70
	v_fmac_f16_e32 v73, -0.5, v53
	v_add_f16_e32 v77, v77, v85
	v_fmamk_f16 v64, v94, 0xbb9c, v67
	v_sub_f16_e32 v48, v80, v48
	v_fmac_f16_e32 v67, 0x3b9c, v94
	v_fmamk_f16 v53, v91, 0x3b9c, v73
	v_fmac_f16_e32 v73, 0xbb9c, v91
	v_add_f16_e32 v35, v35, v40
	v_fmac_f16_e32 v64, 0x38b4, v58
	v_fmac_f16_e32 v57, 0xbb9c, v58
	v_fmac_f16_e32 v47, 0x3b9c, v54
	v_fmac_f16_e32 v93, -0.5, v77
	v_add_f16_e32 v40, v49, v48
	v_fmac_f16_e32 v53, 0xb8b4, v54
	v_fmac_f16_e32 v67, 0xb8b4, v58
	;; [unrolled: 1-line block ×6, first 2 shown]
	v_fmamk_f16 v72, v108, 0x3b9c, v93
	v_fmac_f16_e32 v93, 0xbb9c, v108
	v_fmac_f16_e32 v53, 0x34f2, v40
	;; [unrolled: 1-line block ×4, first 2 shown]
	v_mul_f16_e32 v49, 0xbb9c, v64
	v_fmac_f16_e32 v102, 0xbb9c, v103
	v_fmac_f16_e32 v104, 0x3b9c, v105
	;; [unrolled: 1-line block ×6, first 2 shown]
	v_mul_f16_e32 v48, 0x3b9c, v53
	v_mul_f16_e32 v35, 0x34f2, v67
	;; [unrolled: 1-line block ×3, first 2 shown]
	v_fmac_f16_e32 v49, 0x34f2, v53
	v_fmac_f16_e32 v102, 0xb8b4, v106
	;; [unrolled: 1-line block ×3, first 2 shown]
	v_mul_f16_e32 v53, 0x3a79, v57
	v_mul_f16_e32 v54, 0x3a79, v47
	v_fmac_f16_e32 v72, 0x34f2, v50
	v_fmac_f16_e32 v93, 0x34f2, v50
	v_fmac_f16_e32 v48, 0x34f2, v64
	v_fma_f16 v35, v73, 0x3b9c, -v35
	v_fma_f16 v40, v67, 0xbb9c, -v40
	v_fmac_f16_e32 v102, 0x34f2, v38
	v_fmac_f16_e32 v104, 0x34f2, v96
	v_fma_f16 v38, v47, 0x38b4, -v53
	v_fma_f16 v47, v57, 0xb8b4, -v54
	v_add_f16_e32 v50, v81, v48
	v_add_f16_e32 v58, v72, v49
	;; [unrolled: 1-line block ×4, first 2 shown]
	v_sub_f16_e32 v57, v99, v100
	v_add_f16_e32 v64, v102, v38
	v_add_f16_e32 v65, v104, v47
	v_sub_f16_e32 v63, v63, v98
	v_pack_b32_f16 v50, v50, v58
	v_pack_b32_f16 v53, v53, v54
	s_waitcnt vmcnt(0) lgkmcnt(0)
	v_pack_b32_f16 v54, v64, v65
	v_pack_b32_f16 v57, v57, v63
	s_barrier
	buffer_gl0_inv
	ds_write2_b32 v61, v101, v78 offset1:10
	ds_write2_b32 v61, v50, v53 offset0:20 offset1:30
	ds_write2_b32 v61, v54, v57 offset0:40 offset1:50
	v_sub_f16_e32 v50, v62, v97
	v_sub_f16_e32 v39, v107, v39
	;; [unrolled: 1-line block ×8, first 2 shown]
	v_pack_b32_f16 v39, v50, v39
	v_lshrrev_b32_e32 v50, 16, v10
	v_pack_b32_f16 v48, v48, v49
	v_pack_b32_f16 v35, v35, v40
	;; [unrolled: 1-line block ×3, first 2 shown]
	v_mul_f16_sdwa v40, v10, v71 dst_sel:DWORD dst_unused:UNUSED_PAD src0_sel:DWORD src1_sel:WORD_1
	v_mul_f16_sdwa v47, v50, v71 dst_sel:DWORD dst_unused:UNUSED_PAD src0_sel:DWORD src1_sel:WORD_1
	ds_write2_b32 v61, v39, v48 offset0:60 offset1:70
	v_lshrrev_b32_e32 v39, 16, v11
	ds_write2_b32 v61, v35, v38 offset0:80 offset1:90
	v_add_f16_e32 v35, v84, v90
	v_fma_f16 v10, v10, v71, -v47
	v_mul_f16_sdwa v47, v11, v75 dst_sel:DWORD dst_unused:UNUSED_PAD src0_sel:DWORD src1_sel:WORD_1
	v_fmac_f16_e32 v40, v50, v71
	v_mul_f16_sdwa v38, v39, v75 dst_sel:DWORD dst_unused:UNUSED_PAD src0_sel:DWORD src1_sel:WORD_1
	v_sub_f16_e32 v48, v76, v84
	v_sub_f16_e32 v49, v51, v90
	v_fma_f16 v35, -0.5, v35, v68
	v_sub_f16_e32 v50, v82, v89
	v_fmac_f16_e32 v47, v39, v75
	v_add_f16_e32 v39, v76, v51
	v_add_f16_e32 v54, v68, v76
	v_fma_f16 v11, v11, v75, -v38
	v_add_f16_e32 v38, v48, v49
	v_fmamk_f16 v48, v50, 0x3b9c, v35
	v_sub_f16_e32 v49, v83, v88
	v_lshrrev_b32_e32 v53, 16, v68
	v_fmac_f16_e32 v68, -0.5, v39
	v_fmac_f16_e32 v35, 0xbb9c, v50
	v_add_f16_e32 v54, v54, v84
	v_fmac_f16_e32 v48, 0x38b4, v49
	v_sub_f16_e32 v39, v84, v76
	v_fmamk_f16 v58, v49, 0xbb9c, v68
	v_fmac_f16_e32 v68, 0x3b9c, v49
	v_fmac_f16_e32 v35, 0xb8b4, v49
	v_add_f16_e32 v49, v54, v90
	v_sub_f16_e32 v57, v90, v51
	v_fmac_f16_e32 v48, 0x34f2, v38
	v_fmac_f16_e32 v58, 0x38b4, v50
	;; [unrolled: 1-line block ×3, first 2 shown]
	v_add_f16_e32 v38, v49, v51
	v_add_f16_e32 v49, v83, v88
	;; [unrolled: 1-line block ×3, first 2 shown]
	v_fmac_f16_e32 v68, 0xb8b4, v50
	v_sub_f16_e32 v50, v76, v51
	v_sub_f16_e32 v51, v82, v83
	;; [unrolled: 1-line block ×3, first 2 shown]
	v_fma_f16 v49, -0.5, v49, v53
	v_add_f16_e32 v61, v82, v89
	v_fmac_f16_e32 v58, 0x34f2, v39
	v_fmac_f16_e32 v68, 0x34f2, v39
	v_add_f16_e32 v39, v53, v82
	v_sub_f16_e32 v57, v84, v90
	v_add_f16_e32 v51, v51, v54
	v_fmamk_f16 v54, v50, 0xbb9c, v49
	v_fmac_f16_e32 v49, 0x3b9c, v50
	v_fmac_f16_e32 v53, -0.5, v61
	v_sub_f16_e32 v61, v83, v82
	v_sub_f16_e32 v62, v88, v89
	v_fmac_f16_e32 v54, 0xb8b4, v57
	v_fmac_f16_e32 v49, 0x38b4, v57
	v_fmamk_f16 v63, v57, 0x3b9c, v53
	v_fmac_f16_e32 v53, 0xbb9c, v57
	v_add_f16_e32 v57, v61, v62
	v_fmac_f16_e32 v54, 0x34f2, v51
	v_fmac_f16_e32 v49, 0x34f2, v51
	v_add_f16_e32 v51, v20, v37
	v_fmac_f16_e32 v63, 0xb8b4, v50
	v_sub_f16_e32 v61, v86, v20
	v_sub_f16_e32 v62, v10, v37
	v_fmac_f16_e32 v53, 0x38b4, v50
	v_add_f16_e32 v50, v86, v10
	v_fma_f16 v51, -0.5, v51, v19
	v_sub_f16_e32 v67, v21, v23
	v_add_f16_e32 v61, v61, v62
	v_add_f16_e32 v62, v19, v86
	v_fmac_f16_e32 v19, -0.5, v50
	v_sub_f16_e32 v64, v74, v40
	v_sub_f16_e32 v50, v20, v86
	;; [unrolled: 1-line block ×3, first 2 shown]
	v_add_f16_e32 v62, v62, v20
	v_fmamk_f16 v70, v67, 0xbb9c, v19
	v_fmac_f16_e32 v19, 0x3b9c, v67
	v_fmamk_f16 v65, v64, 0x3b9c, v51
	v_fmac_f16_e32 v51, 0xbb9c, v64
	v_add_f16_e32 v50, v50, v69
	v_fmac_f16_e32 v70, 0x38b4, v64
	v_fmac_f16_e32 v19, 0xb8b4, v64
	;; [unrolled: 1-line block ×4, first 2 shown]
	v_add_f16_e32 v57, v62, v37
	v_fmac_f16_e32 v65, 0x38b4, v67
	v_fmac_f16_e32 v51, 0xb8b4, v67
	;; [unrolled: 1-line block ×4, first 2 shown]
	v_add_f16_e32 v50, v57, v10
	v_add_f16_e32 v57, v21, v23
	v_sub_f16_e32 v20, v20, v37
	v_add_f16_e32 v37, v74, v40
	v_fmac_f16_e32 v65, 0x34f2, v61
	v_fmac_f16_e32 v51, 0x34f2, v61
	v_sub_f16_e32 v10, v86, v10
	v_add_f16_e32 v61, v36, v74
	v_fma_f16 v57, -0.5, v57, v36
	v_fmac_f16_e32 v36, -0.5, v37
	v_sub_f16_e32 v62, v74, v21
	v_sub_f16_e32 v64, v40, v23
	v_add_f16_e32 v37, v61, v21
	v_sub_f16_e32 v21, v21, v74
	v_fmamk_f16 v61, v10, 0xbb9c, v57
	v_sub_f16_e32 v67, v23, v40
	v_fmamk_f16 v69, v20, 0x3b9c, v36
	v_fmac_f16_e32 v57, 0x3b9c, v10
	v_fmac_f16_e32 v36, 0xbb9c, v20
	v_add_f16_e32 v39, v39, v83
	v_add_f16_e32 v62, v62, v64
	v_add_f16_e32 v23, v37, v23
	v_fmac_f16_e32 v61, 0xb8b4, v20
	v_add_f16_e32 v21, v21, v67
	v_fmac_f16_e32 v69, 0xb8b4, v10
	v_fmac_f16_e32 v57, 0x38b4, v20
	;; [unrolled: 1-line block ×3, first 2 shown]
	v_add_f16_e32 v39, v39, v88
	v_fmac_f16_e32 v61, 0x34f2, v62
	v_add_f16_e32 v23, v23, v40
	v_fmac_f16_e32 v69, 0x34f2, v21
	v_mul_f16_e32 v20, 0xb8b4, v65
	v_fmac_f16_e32 v57, 0x34f2, v62
	v_fmac_f16_e32 v36, 0x34f2, v21
	v_mul_f16_e32 v21, 0xbb9c, v70
	v_mul_f16_e32 v40, 0x34f2, v19
	v_mul_f16_e32 v62, 0x3a79, v51
	v_add_f16_e32 v39, v39, v89
	v_mul_f16_e32 v10, 0x38b4, v61
	v_fmac_f16_e32 v20, 0x3a79, v61
	v_mul_f16_e32 v61, 0x34f2, v36
	v_mul_f16_e32 v64, 0x3a79, v57
	v_fmac_f16_e32 v21, 0x34f2, v69
	v_fma_f16 v36, v36, 0x3b9c, -v40
	v_fma_f16 v40, v57, 0x38b4, -v62
	v_mul_f16_e32 v37, 0x3b9c, v69
	v_fma_f16 v19, v19, 0xbb9c, -v61
	v_fma_f16 v51, v51, 0xb8b4, -v64
	v_sub_f16_e32 v64, v9, v18
	v_add_f16_e32 v61, v35, v40
	v_sub_f16_e32 v35, v35, v40
	v_add_f16_e32 v40, v39, v23
	;; [unrolled: 2-line block ×4, first 2 shown]
	v_sub_f16_e32 v21, v63, v21
	v_sub_f16_e32 v63, v17, v14
	v_fmac_f16_e32 v10, 0x3a79, v65
	v_fmac_f16_e32 v37, 0x34f2, v70
	v_add_f16_e32 v62, v14, v18
	v_add_f16_e32 v57, v38, v50
	;; [unrolled: 1-line block ×4, first 2 shown]
	v_sub_f16_e32 v38, v38, v50
	v_add_f16_e32 v50, v48, v10
	v_sub_f16_e32 v10, v48, v10
	v_add_f16_e32 v48, v58, v37
	;; [unrolled: 2-line block ×4, first 2 shown]
	v_sub_f16_e32 v19, v53, v19
	v_fma_f16 v53, -0.5, v62, v66
	v_sub_f16_e32 v62, v16, v8
	v_lshrrev_b32_e32 v67, 16, v66
	v_add_f16_e32 v68, v66, v17
	v_sub_f16_e32 v70, v13, v15
	v_fmac_f16_e32 v66, -0.5, v64
	v_fmamk_f16 v69, v62, 0x3b9c, v53
	v_fmac_f16_e32 v53, 0xbb9c, v62
	v_sub_f16_e32 v64, v14, v17
	v_sub_f16_e32 v71, v18, v9
	v_fmamk_f16 v72, v70, 0xbb9c, v66
	v_fmac_f16_e32 v66, 0x3b9c, v70
	v_fmac_f16_e32 v69, 0x38b4, v70
	;; [unrolled: 1-line block ×3, first 2 shown]
	v_add_f16_e32 v64, v64, v71
	v_add_f16_e32 v68, v68, v14
	v_fmac_f16_e32 v72, 0x38b4, v62
	v_fmac_f16_e32 v66, 0xb8b4, v62
	v_add_f16_e32 v62, v49, v51
	v_sub_f16_e32 v49, v49, v51
	v_add_f16_e32 v51, v68, v18
	v_fmac_f16_e32 v69, 0x34f2, v63
	v_fmac_f16_e32 v53, 0x34f2, v63
	;; [unrolled: 1-line block ×4, first 2 shown]
	v_add_f16_e32 v63, v67, v16
	v_add_f16_e32 v64, v13, v15
	;; [unrolled: 1-line block ×3, first 2 shown]
	v_sub_f16_e32 v9, v17, v9
	v_sub_f16_e32 v17, v16, v13
	;; [unrolled: 1-line block ×3, first 2 shown]
	v_add_f16_e32 v63, v63, v13
	v_fma_f16 v64, -0.5, v64, v67
	v_sub_f16_e32 v14, v14, v18
	v_add_f16_e32 v18, v16, v8
	v_add_f16_e32 v17, v17, v68
	;; [unrolled: 1-line block ×3, first 2 shown]
	v_fmamk_f16 v68, v9, 0xbb9c, v64
	v_fmac_f16_e32 v64, 0x3b9c, v9
	v_fmac_f16_e32 v67, -0.5, v18
	v_sub_f16_e32 v13, v13, v16
	v_add_f16_e32 v16, v63, v8
	v_fmac_f16_e32 v68, 0xb8b4, v14
	v_fmac_f16_e32 v64, 0x38b4, v14
	v_sub_f16_e32 v8, v15, v8
	v_fmamk_f16 v15, v14, 0x3b9c, v67
	v_fmac_f16_e32 v67, 0xbb9c, v14
	v_fmac_f16_e32 v68, 0x34f2, v17
	;; [unrolled: 1-line block ×3, first 2 shown]
	v_add_f16_e32 v14, v7, v12
	v_add_f16_e32 v8, v13, v8
	v_fmac_f16_e32 v15, 0xb8b4, v9
	v_sub_f16_e32 v13, v3, v7
	v_sub_f16_e32 v17, v11, v12
	v_fmac_f16_e32 v67, 0x38b4, v9
	v_add_f16_e32 v9, v3, v11
	v_fma_f16 v14, -0.5, v14, v0
	v_sub_f16_e32 v70, v6, v5
	v_add_f16_e32 v13, v13, v17
	v_add_f16_e32 v17, v0, v3
	v_fmac_f16_e32 v0, -0.5, v9
	v_sub_f16_e32 v18, v2, v47
	v_sub_f16_e32 v9, v7, v3
	;; [unrolled: 1-line block ×3, first 2 shown]
	v_add_f16_e32 v17, v17, v7
	v_fmamk_f16 v73, v70, 0xbb9c, v0
	v_fmac_f16_e32 v0, 0x3b9c, v70
	v_fmac_f16_e32 v15, 0x34f2, v8
	v_add_f16_e32 v9, v9, v71
	v_fmac_f16_e32 v67, 0x34f2, v8
	v_fmac_f16_e32 v73, 0x38b4, v18
	;; [unrolled: 1-line block ×3, first 2 shown]
	v_add_f16_e32 v8, v17, v12
	v_fmamk_f16 v63, v18, 0x3b9c, v14
	v_fmac_f16_e32 v14, 0xbb9c, v18
	v_fmac_f16_e32 v73, 0x34f2, v9
	;; [unrolled: 1-line block ×3, first 2 shown]
	v_add_f16_e32 v8, v8, v11
	v_sub_f16_e32 v3, v3, v11
	v_add_f16_e32 v9, v6, v5
	v_add_f16_e32 v11, v2, v47
	v_fmac_f16_e32 v63, 0x38b4, v70
	v_fmac_f16_e32 v14, 0xb8b4, v70
	v_sub_f16_e32 v7, v7, v12
	v_add_f16_e32 v12, v1, v2
	v_fma_f16 v9, -0.5, v9, v1
	v_fmac_f16_e32 v1, -0.5, v11
	v_fmac_f16_e32 v63, 0x34f2, v13
	v_fmac_f16_e32 v14, 0x34f2, v13
	v_sub_f16_e32 v13, v2, v6
	v_add_f16_e32 v11, v12, v6
	v_sub_f16_e32 v2, v6, v2
	v_sub_f16_e32 v12, v5, v47
	v_fmamk_f16 v18, v7, 0x3b9c, v1
	v_fmac_f16_e32 v1, 0xbb9c, v7
	v_sub_f16_e32 v17, v47, v5
	v_fmamk_f16 v6, v3, 0xbb9c, v9
	v_add_f16_e32 v5, v11, v5
	v_add_f16_e32 v2, v2, v12
	v_fmac_f16_e32 v18, 0xb8b4, v3
	v_fmac_f16_e32 v1, 0x38b4, v3
	v_add_f16_e32 v13, v13, v17
	v_fmac_f16_e32 v6, 0xb8b4, v7
	v_fmac_f16_e32 v9, 0x3b9c, v3
	;; [unrolled: 3-line block ×3, first 2 shown]
	v_mul_f16_e32 v2, 0xbb9c, v73
	v_fmac_f16_e32 v6, 0x34f2, v13
	v_fmac_f16_e32 v9, 0x38b4, v7
	v_mul_f16_e32 v7, 0xb8b4, v63
	v_add_f16_e32 v47, v16, v5
	v_fmac_f16_e32 v2, 0x34f2, v18
	v_sub_f16_e32 v5, v16, v5
	v_mul_u32_u24_sdwa v4, v55, v4 dst_sel:DWORD dst_unused:UNUSED_PAD src0_sel:WORD_0 src1_sel:DWORD
	v_lshlrev_b32_sdwa v16, v22, v56 dst_sel:DWORD dst_unused:UNUSED_PAD src0_sel:DWORD src1_sel:BYTE_0
	v_mul_f16_e32 v3, 0x38b4, v6
	v_mul_f16_e32 v11, 0x3b9c, v18
	v_fmac_f16_e32 v9, 0x34f2, v13
	v_fmac_f16_e32 v7, 0x3a79, v6
	v_mul_f16_e32 v6, 0x34f2, v0
	v_mul_f16_e32 v12, 0x34f2, v1
	v_add_f16_e32 v55, v15, v2
	v_sub_f16_e32 v2, v15, v2
	v_add3_u32 v4, 0, v4, v16
	v_pack_b32_f16 v15, v57, v40
	v_pack_b32_f16 v16, v50, v39
	;; [unrolled: 1-line block ×4, first 2 shown]
	v_fmac_f16_e32 v3, 0x3a79, v63
	v_mul_f16_e32 v13, 0x3a79, v14
	v_fmac_f16_e32 v11, 0x34f2, v73
	v_mul_f16_e32 v17, 0x3a79, v9
	v_fma_f16 v1, v1, 0x3b9c, -v6
	v_fma_f16 v0, v0, 0xbb9c, -v12
	ds_write2_b32 v4, v15, v16 offset1:10
	ds_write2_b32 v4, v39, v40 offset0:20 offset1:30
	v_pack_b32_f16 v15, v61, v62
	v_pack_b32_f16 v16, v38, v23
	v_fma_f16 v6, v9, 0x38b4, -v13
	v_add_f16_e32 v12, v51, v8
	v_sub_f16_e32 v8, v51, v8
	v_add_f16_e32 v13, v69, v3
	v_add_f16_e32 v51, v68, v7
	v_mul_u32_u24_e32 v23, 0x190, v59
	v_lshlrev_b32_sdwa v38, v22, v60 dst_sel:DWORD dst_unused:UNUSED_PAD src0_sel:DWORD src1_sel:WORD_0
	v_fma_f16 v9, v14, 0xb8b4, -v17
	v_add_f16_e32 v14, v72, v11
	v_add_f16_e32 v17, v66, v1
	;; [unrolled: 1-line block ×3, first 2 shown]
	v_pack_b32_f16 v10, v10, v20
	v_pack_b32_f16 v20, v37, v21
	ds_write2_b32 v4, v15, v16 offset0:40 offset1:50
	v_add_nc_u32_e32 v15, 0xffffff9c, v24
	v_pack_b32_f16 v19, v36, v19
	v_pack_b32_f16 v21, v35, v49
	v_add3_u32 v23, 0, v23, v38
	v_pack_b32_f16 v12, v12, v47
	v_pack_b32_f16 v13, v13, v51
	v_add_f16_e32 v18, v53, v6
	v_sub_f16_e32 v6, v53, v6
	ds_write2_b32 v4, v10, v20 offset0:60 offset1:70
	ds_write2_b32 v4, v19, v21 offset0:80 offset1:90
	ds_write2_b32 v23, v12, v13 offset1:10
	v_cndmask_b32_e64 v53, v15, v24, s0
	v_pack_b32_f16 v4, v14, v55
	v_pack_b32_f16 v10, v17, v48
	v_sub_f16_e32 v3, v69, v3
	v_sub_f16_e32 v1, v66, v1
	;; [unrolled: 1-line block ×4, first 2 shown]
	v_add_f16_e32 v50, v64, v9
	v_mul_i32_i24_e32 v19, 5, v53
	v_mov_b32_e32 v20, 0
	ds_write2_b32 v23, v4, v10 offset0:20 offset1:30
	v_mul_lo_u16 v4, v52, 41
	v_pack_b32_f16 v12, v18, v50
	v_pack_b32_f16 v3, v3, v7
	;; [unrolled: 1-line block ×3, first 2 shown]
	v_lshlrev_b64 v[0:1], 2, v[19:20]
	v_lshrrev_b16 v50, 12, v4
	v_sub_f16_e32 v9, v64, v9
	v_sub_f16_e32 v11, v72, v11
	v_pack_b32_f16 v5, v8, v5
	v_mov_b32_e32 v13, 0x147b
	v_mul_lo_u16 v4, 0x64, v50
	v_add_co_u32 v54, s0, s12, v0
	v_pack_b32_f16 v6, v6, v9
	v_add_co_ci_u32_e64 v55, s0, s13, v1, s0
	v_pack_b32_f16 v2, v11, v2
	v_sub_nc_u16 v52, v28, v4
	v_lshrrev_b16 v4, 2, v34
	ds_write2_b32 v23, v12, v5 offset0:40 offset1:50
	ds_write2_b32 v23, v3, v2 offset0:60 offset1:70
	;; [unrolled: 1-line block ×3, first 2 shown]
	s_waitcnt lgkmcnt(0)
	s_barrier
	buffer_gl0_inv
	global_load_dwordx4 v[0:3], v[54:55], off offset:360
	v_mul_u32_u24_sdwa v4, v4, v13 dst_sel:DWORD dst_unused:UNUSED_PAD src0_sel:WORD_0 src1_sel:DWORD
	v_mov_b32_e32 v12, 5
	v_add_nc_u32_e32 v39, 0x800, v41
	v_add_nc_u32_e32 v47, 0x2200, v41
	;; [unrolled: 1-line block ×3, first 2 shown]
	v_lshrrev_b32_e32 v40, 17, v4
	v_mul_u32_u24_sdwa v5, v52, v12 dst_sel:DWORD dst_unused:UNUSED_PAD src0_sel:BYTE_0 src1_sel:DWORD
	v_add_nc_u32_e32 v49, 0x2600, v41
	v_cmp_lt_u32_e64 s0, 0x63, v24
	v_lshlrev_b32_sdwa v52, v22, v52 dst_sel:DWORD dst_unused:UNUSED_PAD src0_sel:DWORD src1_sel:BYTE_0
	v_mul_lo_u16 v8, 0x64, v40
	v_lshlrev_b32_e32 v21, 2, v5
	v_sub_nc_u16 v48, v34, v8
	global_load_dwordx4 v[4:7], v21, s[12:13] offset:360
	v_lshrrev_b16 v8, 2, v33
	v_mul_u32_u24_sdwa v9, v48, v12 dst_sel:DWORD dst_unused:UNUSED_PAD src0_sel:WORD_0 src1_sel:DWORD
	v_mul_u32_u24_sdwa v8, v8, v13 dst_sel:DWORD dst_unused:UNUSED_PAD src0_sel:WORD_0 src1_sel:DWORD
	v_lshlrev_b32_e32 v38, 2, v9
	v_lshrrev_b32_e32 v23, 17, v8
	global_load_dwordx4 v[8:11], v38, s[12:13] offset:360
	v_mul_lo_u16 v14, 0x64, v23
	v_mul_u32_u24_e32 v23, 0x960, v23
	v_sub_nc_u16 v35, v33, v14
	v_lshrrev_b16 v14, 2, v32
	v_mul_u32_u24_sdwa v15, v35, v12 dst_sel:DWORD dst_unused:UNUSED_PAD src0_sel:WORD_0 src1_sel:DWORD
	v_mul_u32_u24_sdwa v13, v14, v13 dst_sel:DWORD dst_unused:UNUSED_PAD src0_sel:WORD_0 src1_sel:DWORD
	v_lshlrev_b32_sdwa v35, v22, v35 dst_sel:DWORD dst_unused:UNUSED_PAD src0_sel:DWORD src1_sel:WORD_0
	v_lshlrev_b32_e32 v65, 2, v15
	v_lshrrev_b32_e32 v36, 17, v13
	v_add3_u32 v23, 0, v23, v35
	global_load_dwordx4 v[16:19], v65, s[12:13] offset:360
	v_mul_lo_u16 v13, 0x64, v36
	v_sub_nc_u16 v37, v32, v13
	v_mul_u32_u24_sdwa v12, v37, v12 dst_sel:DWORD dst_unused:UNUSED_PAD src0_sel:WORD_0 src1_sel:DWORD
	v_lshlrev_b32_e32 v66, 2, v12
	s_clause 0x3
	global_load_dwordx4 v[12:15], v66, s[12:13] offset:360
	global_load_dword v67, v[54:55], off offset:376
	global_load_dword v68, v21, s[12:13] offset:376
	global_load_dword v69, v38, s[12:13] offset:376
	v_add_nc_u32_e32 v38, 0x1000, v41
	ds_read2_b32 v[55:56], v39 offset0:88 offset1:208
	ds_read2_b32 v[57:58], v47 offset0:104 offset1:224
	;; [unrolled: 1-line block ×4, first 2 shown]
	ds_read_u16 v70, v41 offset:7202
	s_clause 0x1
	global_load_dword v78, v65, s[12:13] offset:376
	global_load_dword v80, v66, s[12:13] offset:376
	ds_read2_b32 v[63:64], v51 offset0:40 offset1:160
	s_waitcnt lgkmcnt(5)
	v_lshrrev_b32_e32 v21, 16, v55
	s_waitcnt lgkmcnt(4)
	v_lshrrev_b32_e32 v71, 16, v58
	;; [unrolled: 2-line block ×3, first 2 shown]
	v_lshrrev_b32_e32 v72, 16, v56
	s_waitcnt lgkmcnt(2)
	v_lshrrev_b32_e32 v87, 16, v62
	v_lshrrev_b32_e32 v97, 16, v57
	s_waitcnt vmcnt(9)
	v_mul_f16_sdwa v73, v0, v55 dst_sel:DWORD dst_unused:UNUSED_PAD src0_sel:WORD_1 src1_sel:DWORD
	v_mul_f16_sdwa v75, v1, v60 dst_sel:DWORD dst_unused:UNUSED_PAD src0_sel:WORD_1 src1_sel:DWORD
	;; [unrolled: 1-line block ×5, first 2 shown]
	v_fmac_f16_e32 v73, v0, v21
	v_lshl_add_u32 v21, v32, 2, 0
	v_fmac_f16_e32 v75, v1, v54
	ds_read_b32 v81, v41 offset:13920
	ds_read_b32 v82, v45
	ds_read_b32 v83, v46
	;; [unrolled: 1-line block ×5, first 2 shown]
	ds_read2_b32 v[65:66], v49 offset0:88 offset1:208
	v_mul_f16_sdwa v79, v58, v3 dst_sel:DWORD dst_unused:UNUSED_PAD src0_sel:DWORD src1_sel:WORD_1
	s_waitcnt lgkmcnt(8)
	v_mul_f16_sdwa v86, v70, v2 dst_sel:DWORD dst_unused:UNUSED_PAD src0_sel:DWORD src1_sel:WORD_1
	v_fmac_f16_e32 v76, v70, v2
	v_mul_f16_sdwa v70, v71, v3 dst_sel:DWORD dst_unused:UNUSED_PAD src0_sel:DWORD src1_sel:WORD_1
	v_fmac_f16_e32 v79, v71, v3
	v_fma_f16 v71, v0, v55, -v74
	v_fma_f16 v74, v1, v60, -v77
	s_waitcnt vmcnt(8)
	v_mul_f16_sdwa v0, v72, v4 dst_sel:DWORD dst_unused:UNUSED_PAD src0_sel:DWORD src1_sel:WORD_1
	v_mul_f16_sdwa v1, v87, v6 dst_sel:DWORD dst_unused:UNUSED_PAD src0_sel:DWORD src1_sel:WORD_1
	v_fma_f16 v77, v2, v61, -v86
	v_fma_f16 v58, v58, v3, -v70
	v_mul_f16_sdwa v70, v56, v4 dst_sel:DWORD dst_unused:UNUSED_PAD src0_sel:DWORD src1_sel:WORD_1
	v_mul_f16_sdwa v89, v62, v6 dst_sel:DWORD dst_unused:UNUSED_PAD src0_sel:DWORD src1_sel:WORD_1
	v_add_nc_u32_e32 v2, 0xc00, v41
	v_fma_f16 v86, v56, v4, -v0
	v_fma_f16 v88, v62, v6, -v1
	v_fmac_f16_e32 v70, v72, v4
	v_add_nc_u32_e32 v1, 0x1e00, v41
	v_fmac_f16_e32 v89, v87, v6
	ds_read2_b32 v[55:56], v2 offset0:72 offset1:192
	s_waitcnt lgkmcnt(1)
	v_lshrrev_b32_e32 v3, 16, v65
	v_mul_f16_sdwa v87, v65, v7 dst_sel:DWORD dst_unused:UNUSED_PAD src0_sel:DWORD src1_sel:WORD_1
	v_lshrrev_b32_e32 v4, 16, v64
	v_lshrrev_b32_e32 v0, 16, v63
	v_mul_f16_sdwa v72, v63, v5 dst_sel:DWORD dst_unused:UNUSED_PAD src0_sel:DWORD src1_sel:WORD_1
	ds_read2_b32 v[60:61], v1 offset0:120 offset1:240
	v_mul_f16_sdwa v6, v3, v7 dst_sel:DWORD dst_unused:UNUSED_PAD src0_sel:DWORD src1_sel:WORD_1
	v_fmac_f16_e32 v87, v3, v7
	s_waitcnt vmcnt(7)
	v_mul_f16_sdwa v3, v4, v9 dst_sel:DWORD dst_unused:UNUSED_PAD src0_sel:DWORD src1_sel:WORD_1
	v_fmac_f16_e32 v72, v0, v5
	v_lshrrev_b32_e32 v90, 16, v66
	v_mul_f16_sdwa v0, v0, v5 dst_sel:DWORD dst_unused:UNUSED_PAD src0_sel:DWORD src1_sel:WORD_1
	v_mul_f16_sdwa v92, v64, v9 dst_sel:DWORD dst_unused:UNUSED_PAD src0_sel:DWORD src1_sel:WORD_1
	v_fma_f16 v64, v64, v9, -v3
	v_add_nc_u32_e32 v3, 0x1800, v41
	v_mul_f16_sdwa v62, v90, v11 dst_sel:DWORD dst_unused:UNUSED_PAD src0_sel:DWORD src1_sel:WORD_1
	v_fma_f16 v91, v63, v5, -v0
	v_fma_f16 v65, v65, v7, -v6
	v_fmac_f16_e32 v92, v4, v9
	ds_read2_b32 v[5:6], v3 offset0:24 offset1:144
	v_fma_f16 v93, v66, v11, -v62
	v_mul_f16_sdwa v66, v66, v11 dst_sel:DWORD dst_unused:UNUSED_PAD src0_sel:DWORD src1_sel:WORD_1
	s_waitcnt lgkmcnt(2)
	v_lshrrev_b32_e32 v0, 16, v55
	v_add_nc_u32_e32 v4, 0x2a00, v41
	v_mul_f16_sdwa v9, v55, v8 dst_sel:DWORD dst_unused:UNUSED_PAD src0_sel:DWORD src1_sel:WORD_1
	s_waitcnt lgkmcnt(1)
	v_lshrrev_b32_e32 v7, 16, v60
	v_fmac_f16_e32 v66, v90, v11
	v_lshrrev_b32_e32 v11, 16, v56
	ds_read2_b32 v[62:63], v4 offset0:72 offset1:192
	v_fmac_f16_e32 v9, v0, v8
	v_mul_f16_sdwa v0, v0, v8 dst_sel:DWORD dst_unused:UNUSED_PAD src0_sel:DWORD src1_sel:WORD_1
	v_lshrrev_b32_e32 v90, 16, v61
	v_mul_f16_sdwa v94, v60, v10 dst_sel:DWORD dst_unused:UNUSED_PAD src0_sel:DWORD src1_sel:WORD_1
	v_mul_f16_sdwa v95, v7, v10 dst_sel:DWORD dst_unused:UNUSED_PAD src0_sel:DWORD src1_sel:WORD_1
	s_waitcnt vmcnt(6)
	v_mul_f16_sdwa v96, v11, v16 dst_sel:DWORD dst_unused:UNUSED_PAD src0_sel:DWORD src1_sel:WORD_1
	v_fma_f16 v55, v55, v8, -v0
	v_mul_f16_sdwa v0, v90, v18 dst_sel:DWORD dst_unused:UNUSED_PAD src0_sel:DWORD src1_sel:WORD_1
	v_fmac_f16_e32 v94, v7, v10
	v_fma_f16 v10, v60, v10, -v95
	v_fma_f16 v60, v56, v16, -v96
	v_mul_f16_sdwa v95, v61, v18 dst_sel:DWORD dst_unused:UNUSED_PAD src0_sel:DWORD src1_sel:WORD_1
	v_fma_f16 v61, v61, v18, -v0
	s_waitcnt lgkmcnt(1)
	v_lshrrev_b32_e32 v7, 16, v5
	v_mul_f16_sdwa v96, v5, v17 dst_sel:DWORD dst_unused:UNUSED_PAD src0_sel:DWORD src1_sel:WORD_1
	v_add_nc_u32_e32 v0, 0x2e00, v41
	v_mul_f16_sdwa v56, v56, v16 dst_sel:DWORD dst_unused:UNUSED_PAD src0_sel:DWORD src1_sel:WORD_1
	v_fmac_f16_e32 v95, v90, v18
	v_mul_f16_sdwa v18, v7, v17 dst_sel:DWORD dst_unused:UNUSED_PAD src0_sel:DWORD src1_sel:WORD_1
	v_fmac_f16_e32 v96, v7, v17
	ds_read2_b32 v[7:8], v0 offset0:56 offset1:176
	v_fmac_f16_e32 v56, v11, v16
	s_waitcnt lgkmcnt(1)
	v_lshrrev_b32_e32 v11, 16, v62
	v_mul_f16_sdwa v16, v62, v19 dst_sel:DWORD dst_unused:UNUSED_PAD src0_sel:DWORD src1_sel:WORD_1
	v_fma_f16 v17, v5, v17, -v18
	v_lshrrev_b32_e32 v5, 16, v6
	v_lshrrev_b32_e32 v90, 16, v59
	s_waitcnt vmcnt(5)
	v_mul_f16_sdwa v100, v6, v13 dst_sel:DWORD dst_unused:UNUSED_PAD src0_sel:DWORD src1_sel:WORD_1
	v_fmac_f16_e32 v16, v11, v19
	v_mul_f16_sdwa v11, v11, v19 dst_sel:DWORD dst_unused:UNUSED_PAD src0_sel:DWORD src1_sel:WORD_1
	v_mul_f16_sdwa v98, v97, v14 dst_sel:DWORD dst_unused:UNUSED_PAD src0_sel:DWORD src1_sel:WORD_1
	;; [unrolled: 1-line block ×3, first 2 shown]
	v_fmac_f16_e32 v100, v5, v13
	v_fma_f16 v11, v62, v19, -v11
	v_mul_f16_sdwa v62, v5, v13 dst_sel:DWORD dst_unused:UNUSED_PAD src0_sel:DWORD src1_sel:WORD_1
	v_fma_f16 v18, v59, v12, -v18
	v_mul_f16_sdwa v59, v59, v12 dst_sel:DWORD dst_unused:UNUSED_PAD src0_sel:DWORD src1_sel:WORD_1
	;; [unrolled: 2-line block ×3, first 2 shown]
	v_fma_f16 v62, v6, v13, -v62
	s_waitcnt lgkmcnt(0)
	v_lshrrev_b32_e32 v6, 16, v7
	s_waitcnt vmcnt(4)
	v_mul_f16_sdwa v101, v7, v67 dst_sel:DWORD dst_unused:UNUSED_PAD src0_sel:DWORD src1_sel:WORD_1
	v_fmac_f16_e32 v59, v90, v12
	v_lshrrev_b32_e32 v12, 16, v85
	v_add_f16_e32 v13, v75, v79
	v_mul_f16_sdwa v5, v6, v67 dst_sel:DWORD dst_unused:UNUSED_PAD src0_sel:DWORD src1_sel:WORD_1
	v_fmac_f16_e32 v101, v6, v67
	v_add_f16_e32 v6, v74, v58
	v_fmac_f16_e32 v57, v97, v14
	v_lshrrev_b32_e32 v19, 16, v63
	v_fma_f16 v5, v7, v67, -v5
	v_add_f16_e32 v7, v85, v74
	v_fmac_f16_e32 v85, -0.5, v6
	v_add_f16_e32 v6, v12, v75
	v_fmac_f16_e32 v12, -0.5, v13
	v_add_f16_e32 v13, v77, v5
	v_add_f16_e32 v67, v76, v101
	;; [unrolled: 1-line block ×3, first 2 shown]
	v_sub_f16_e32 v7, v75, v79
	v_add_f16_e32 v75, v71, v77
	v_fmac_f16_e32 v71, -0.5, v13
	v_sub_f16_e32 v13, v76, v101
	v_add_f16_e32 v76, v73, v76
	v_fmac_f16_e32 v73, -0.5, v67
	v_sub_f16_e32 v67, v77, v5
	v_sub_f16_e32 v58, v74, v58
	v_fmamk_f16 v77, v13, 0x3aee, v71
	v_fmac_f16_e32 v71, 0xbaee, v13
	v_mul_f16_sdwa v99, v19, v15 dst_sel:DWORD dst_unused:UNUSED_PAD src0_sel:DWORD src1_sel:WORD_1
	v_fmamk_f16 v13, v67, 0xbaee, v73
	v_fmac_f16_e32 v73, 0x3aee, v67
	v_fmamk_f16 v74, v7, 0x3aee, v85
	v_mul_f16_e32 v90, -0.5, v71
	v_fmac_f16_e32 v85, 0xbaee, v7
	v_add_f16_e32 v67, v6, v79
	v_mul_f16_e32 v97, -0.5, v73
	v_fmamk_f16 v79, v58, 0xbaee, v12
	v_fmac_f16_e32 v12, 0x3aee, v58
	v_add_f16_e32 v58, v75, v5
	v_add_f16_e32 v75, v76, v101
	v_fmac_f16_e32 v90, 0x3aee, v73
	v_fmac_f16_e32 v97, 0xbaee, v71
	v_fma_f16 v99, v63, v15, -v99
	v_mul_f16_sdwa v63, v63, v15 dst_sel:DWORD dst_unused:UNUSED_PAD src0_sel:DWORD src1_sel:WORD_1
	v_lshlrev_b32_e32 v6, 2, v53
	v_cndmask_b32_e64 v7, 0, 0x960, s0
	v_add_f16_e32 v53, v85, v90
	v_add_f16_e32 v71, v12, v97
	v_sub_f16_e32 v73, v14, v58
	v_sub_f16_e32 v76, v67, v75
	v_fmac_f16_e32 v63, v19, v15
	v_add3_u32 v15, 0, v7, v6
	v_pack_b32_f16 v19, v53, v71
	v_mul_f16_e32 v71, 0x3aee, v13
	v_pack_b32_f16 v53, v73, v76
	v_mul_f16_e32 v73, 0xbaee, v77
	v_add_nc_u32_e32 v5, 0x3200, v41
	v_add_nc_u32_e32 v76, 0x200, v15
	v_fmac_f16_e32 v71, 0.5, v77
	v_sub_f16_e32 v12, v12, v97
	v_fmac_f16_e32 v73, 0.5, v13
	ds_read2_b32 v[6:7], v5 offset0:40 offset1:160
	s_waitcnt vmcnt(0) lgkmcnt(0)
	s_barrier
	buffer_gl0_inv
	ds_write2_b32 v76, v19, v53 offset0:72 offset1:172
	v_add_f16_e32 v13, v14, v58
	v_add_f16_e32 v14, v67, v75
	;; [unrolled: 1-line block ×4, first 2 shown]
	v_sub_f16_e32 v58, v74, v71
	v_sub_f16_e32 v67, v85, v90
	v_lshrrev_b32_e32 v71, 16, v8
	v_sub_f16_e32 v73, v79, v73
	v_pack_b32_f16 v13, v13, v14
	v_pack_b32_f16 v14, v19, v53
	;; [unrolled: 1-line block ×3, first 2 shown]
	v_mul_f16_sdwa v19, v71, v68 dst_sel:DWORD dst_unused:UNUSED_PAD src0_sel:DWORD src1_sel:WORD_1
	v_mul_f16_sdwa v67, v8, v68 dst_sel:DWORD dst_unused:UNUSED_PAD src0_sel:DWORD src1_sel:WORD_1
	v_pack_b32_f16 v53, v58, v73
	v_lshrrev_b32_e32 v73, 16, v83
	v_add_f16_e32 v74, v72, v87
	v_fma_f16 v8, v8, v68, -v19
	v_add_f16_e32 v19, v91, v65
	v_fmac_f16_e32 v67, v71, v68
	v_add_f16_e32 v68, v83, v91
	v_add_f16_e32 v75, v86, v88
	;; [unrolled: 1-line block ×3, first 2 shown]
	v_fmac_f16_e32 v83, -0.5, v19
	v_add_f16_e32 v19, v73, v72
	v_fmac_f16_e32 v73, -0.5, v74
	v_add_f16_e32 v74, v89, v67
	v_fmac_f16_e32 v86, -0.5, v71
	v_sub_f16_e32 v71, v89, v67
	v_add_f16_e32 v76, v70, v89
	v_add_f16_e32 v68, v68, v65
	v_fmac_f16_e32 v70, -0.5, v74
	v_sub_f16_e32 v74, v88, v8
	v_sub_f16_e32 v72, v72, v87
	;; [unrolled: 1-line block ×3, first 2 shown]
	v_fmamk_f16 v79, v71, 0x3aee, v86
	v_fmac_f16_e32 v86, 0xbaee, v71
	v_fmamk_f16 v71, v74, 0xbaee, v70
	v_fmac_f16_e32 v70, 0x3aee, v74
	;; [unrolled: 2-line block ×3, first 2 shown]
	v_fmamk_f16 v72, v65, 0xbaee, v73
	v_mul_f16_e32 v74, -0.5, v86
	v_mul_f16_e32 v85, -0.5, v70
	v_fmac_f16_e32 v73, 0x3aee, v65
	v_mov_b32_e32 v65, 0x960
	v_add_f16_e32 v19, v19, v87
	v_add_f16_e32 v8, v75, v8
	v_fmac_f16_e32 v74, 0x3aee, v70
	v_fmac_f16_e32 v85, 0xbaee, v86
	v_add_f16_e32 v67, v76, v67
	v_mul_u32_u24_sdwa v50, v50, v65 dst_sel:DWORD dst_unused:UNUSED_PAD src0_sel:WORD_0 src1_sel:DWORD
	v_sub_f16_e32 v75, v68, v8
	v_add_f16_e32 v65, v83, v74
	v_add_f16_e32 v70, v73, v85
	v_sub_f16_e32 v76, v19, v67
	v_add3_u32 v50, 0, v50, v52
	v_mul_f16_e32 v86, 0x3aee, v71
	v_mul_f16_e32 v87, 0xbaee, v79
	v_add_nc_u32_e32 v58, 0x400, v15
	v_pack_b32_f16 v52, v65, v70
	v_pack_b32_f16 v65, v75, v76
	v_add_nc_u32_e32 v70, 0x200, v50
	v_fmac_f16_e32 v86, 0.5, v79
	v_fmac_f16_e32 v87, 0.5, v71
	v_add_f16_e32 v8, v68, v8
	v_add_f16_e32 v19, v19, v67
	ds_write2_b32 v15, v13, v14 offset1:100
	ds_write2_b32 v58, v53, v12 offset0:144 offset1:244
	ds_write2_b32 v70, v52, v65 offset0:72 offset1:172
	v_lshrrev_b32_e32 v14, 16, v6
	v_sub_f16_e32 v13, v77, v86
	v_sub_f16_e32 v15, v72, v87
	v_pack_b32_f16 v8, v8, v19
	v_mul_f16_sdwa v19, v6, v69 dst_sel:DWORD dst_unused:UNUSED_PAD src0_sel:DWORD src1_sel:WORD_1
	v_mul_f16_sdwa v58, v14, v69 dst_sel:DWORD dst_unused:UNUSED_PAD src0_sel:DWORD src1_sel:WORD_1
	v_add_f16_e32 v67, v77, v86
	v_add_f16_e32 v68, v72, v87
	v_pack_b32_f16 v13, v13, v15
	v_fmac_f16_e32 v19, v14, v69
	v_add_f16_e32 v14, v64, v93
	v_lshrrev_b32_e32 v15, 16, v82
	v_fma_f16 v6, v6, v69, -v58
	v_add_f16_e32 v58, v92, v66
	v_add_f16_e32 v65, v82, v64
	v_pack_b32_f16 v12, v67, v68
	v_fmac_f16_e32 v82, -0.5, v14
	v_add_f16_e32 v14, v15, v92
	v_add_f16_e32 v67, v10, v6
	v_fmac_f16_e32 v15, -0.5, v58
	v_add_f16_e32 v58, v65, v93
	v_add_f16_e32 v65, v94, v19
	v_add_f16_e32 v68, v55, v10
	v_fmac_f16_e32 v55, -0.5, v67
	v_sub_f16_e32 v67, v94, v19
	v_add_f16_e32 v69, v9, v94
	v_fmac_f16_e32 v9, -0.5, v65
	v_sub_f16_e32 v10, v10, v6
	v_sub_f16_e32 v65, v92, v66
	v_fmamk_f16 v70, v67, 0x3aee, v55
	v_fmac_f16_e32 v55, 0xbaee, v67
	v_sub_f16_e32 v64, v64, v93
	v_fmamk_f16 v67, v10, 0xbaee, v9
	v_fmac_f16_e32 v9, 0x3aee, v10
	v_fmamk_f16 v10, v65, 0x3aee, v82
	v_fmac_f16_e32 v82, 0xbaee, v65
	v_add_f16_e32 v14, v14, v66
	v_mul_f16_e32 v65, -0.5, v55
	v_mul_f16_e32 v66, -0.5, v9
	v_fmamk_f16 v71, v64, 0xbaee, v15
	v_fmac_f16_e32 v15, 0x3aee, v64
	v_add_f16_e32 v6, v68, v6
	v_fmac_f16_e32 v65, 0x3aee, v9
	v_fmac_f16_e32 v66, 0xbaee, v55
	v_add_f16_e32 v9, v69, v19
	v_mul_u32_u24_e32 v19, 0x960, v40
	v_lshlrev_b32_sdwa v40, v22, v48 dst_sel:DWORD dst_unused:UNUSED_PAD src0_sel:DWORD src1_sel:WORD_0
	v_add_f16_e32 v48, v82, v65
	v_add_f16_e32 v55, v15, v66
	v_sub_f16_e32 v64, v58, v6
	v_sub_f16_e32 v68, v14, v9
	v_add3_u32 v19, 0, v19, v40
	v_sub_f16_e32 v52, v83, v74
	v_pack_b32_f16 v40, v48, v55
	v_mul_f16_e32 v55, 0x3aee, v67
	v_pack_b32_f16 v48, v64, v68
	v_mul_f16_e32 v64, 0xbaee, v70
	v_sub_f16_e32 v53, v73, v85
	v_add_f16_e32 v6, v58, v6
	v_fmac_f16_e32 v55, 0.5, v70
	v_sub_f16_e32 v15, v15, v66
	v_fmac_f16_e32 v64, 0.5, v67
	v_pack_b32_f16 v52, v52, v53
	v_add_nc_u32_e32 v53, 0x400, v50
	ds_write2_b32 v50, v8, v12 offset1:100
	ds_write2_b32 v53, v13, v52 offset0:144 offset1:244
	v_add_f16_e32 v8, v14, v9
	v_add_f16_e32 v9, v10, v55
	;; [unrolled: 1-line block ×3, first 2 shown]
	v_sub_f16_e32 v10, v10, v55
	v_sub_f16_e32 v13, v82, v65
	;; [unrolled: 1-line block ×3, first 2 shown]
	v_pack_b32_f16 v6, v6, v8
	v_pack_b32_f16 v8, v9, v12
	v_lshrrev_b32_e32 v9, 16, v7
	v_pack_b32_f16 v12, v13, v15
	v_pack_b32_f16 v10, v10, v14
	v_add_nc_u32_e32 v14, 0x400, v19
	v_lshrrev_b32_e32 v13, 16, v81
	v_mul_f16_sdwa v15, v9, v78 dst_sel:DWORD dst_unused:UNUSED_PAD src0_sel:DWORD src1_sel:WORD_1
	ds_write2_b32 v19, v6, v8 offset1:100
	v_mul_f16_sdwa v6, v7, v78 dst_sel:DWORD dst_unused:UNUSED_PAD src0_sel:DWORD src1_sel:WORD_1
	ds_write2_b32 v14, v10, v12 offset0:144 offset1:244
	v_mul_f16_sdwa v10, v81, v80 dst_sel:DWORD dst_unused:UNUSED_PAD src0_sel:DWORD src1_sel:WORD_1
	v_mul_f16_sdwa v8, v13, v80 dst_sel:DWORD dst_unused:UNUSED_PAD src0_sel:DWORD src1_sel:WORD_1
	v_fma_f16 v7, v7, v78, -v15
	v_fmac_f16_e32 v6, v9, v78
	v_add_f16_e32 v9, v17, v11
	v_lshrrev_b32_e32 v12, 16, v84
	v_fmac_f16_e32 v10, v13, v80
	v_add_f16_e32 v13, v96, v16
	v_add_f16_e32 v14, v84, v17
	v_add_nc_u32_e32 v68, 0x200, v19
	v_fmac_f16_e32 v84, -0.5, v9
	v_add_f16_e32 v9, v12, v96
	v_sub_f16_e32 v15, v96, v16
	v_fmac_f16_e32 v12, -0.5, v13
	v_add_f16_e32 v13, v14, v11
	v_add_f16_e32 v14, v61, v7
	v_add_f16_e32 v19, v95, v6
	ds_write2_b32 v68, v40, v48 offset0:72 offset1:172
	v_sub_f16_e32 v11, v17, v11
	v_fmamk_f16 v17, v15, 0x3aee, v84
	v_fmac_f16_e32 v84, 0xbaee, v15
	v_add_f16_e32 v15, v60, v61
	v_fmac_f16_e32 v60, -0.5, v14
	v_add_f16_e32 v14, v56, v95
	v_fmac_f16_e32 v56, -0.5, v19
	v_sub_f16_e32 v19, v61, v7
	v_sub_f16_e32 v40, v95, v6
	v_add_f16_e32 v9, v9, v16
	v_fmamk_f16 v16, v11, 0xbaee, v12
	v_fmac_f16_e32 v12, 0x3aee, v11
	v_fmamk_f16 v11, v19, 0xbaee, v56
	v_fmamk_f16 v48, v40, 0x3aee, v60
	v_fmac_f16_e32 v60, 0xbaee, v40
	v_fmac_f16_e32 v56, 0x3aee, v19
	v_add_f16_e32 v7, v15, v7
	v_mul_f16_e32 v15, 0x3aee, v11
	v_mul_f16_e32 v19, 0xbaee, v48
	v_mul_f16_e32 v40, -0.5, v60
	v_mul_f16_e32 v50, -0.5, v56
	v_fma_f16 v8, v81, v80, -v8
	v_add_f16_e32 v6, v14, v6
	v_fmac_f16_e32 v15, 0.5, v48
	v_fmac_f16_e32 v19, 0.5, v11
	v_fmac_f16_e32 v40, 0x3aee, v56
	v_fmac_f16_e32 v50, 0xbaee, v60
	v_add_f16_e32 v48, v62, v99
	v_add_f16_e32 v11, v13, v7
	v_sub_f16_e32 v7, v13, v7
	v_add_f16_e32 v13, v17, v15
	v_sub_f16_e32 v14, v17, v15
	v_add_f16_e32 v15, v84, v40
	v_sub_f16_e32 v17, v84, v40
	v_add_f16_e32 v40, v9, v6
	v_sub_f16_e32 v6, v9, v6
	v_add_f16_e32 v9, v16, v19
	v_sub_f16_e32 v16, v16, v19
	v_add_f16_e32 v19, v12, v50
	v_lshrrev_b32_e32 v52, 16, v54
	v_sub_f16_e32 v12, v12, v50
	v_add_f16_e32 v50, v100, v63
	v_add_f16_e32 v53, v54, v62
	v_fmac_f16_e32 v54, -0.5, v48
	v_sub_f16_e32 v55, v100, v63
	v_add_f16_e32 v56, v98, v8
	v_add_f16_e32 v60, v57, v10
	;; [unrolled: 1-line block ×3, first 2 shown]
	v_fmac_f16_e32 v52, -0.5, v50
	v_add_f16_e32 v50, v53, v99
	v_sub_f16_e32 v53, v62, v99
	v_fmamk_f16 v58, v55, 0x3aee, v54
	v_fmac_f16_e32 v54, 0xbaee, v55
	v_add_f16_e32 v55, v18, v98
	v_fmac_f16_e32 v18, -0.5, v56
	v_add_f16_e32 v56, v59, v57
	v_fmac_f16_e32 v59, -0.5, v60
	v_sub_f16_e32 v60, v98, v8
	v_sub_f16_e32 v57, v57, v10
	v_fmamk_f16 v61, v53, 0xbaee, v52
	v_fmac_f16_e32 v52, 0x3aee, v53
	v_add_f16_e32 v8, v55, v8
	v_fmamk_f16 v53, v60, 0xbaee, v59
	v_fmamk_f16 v62, v57, 0x3aee, v18
	v_fmac_f16_e32 v18, 0xbaee, v57
	v_fmac_f16_e32 v59, 0x3aee, v60
	v_add_f16_e32 v48, v48, v63
	v_mul_f16_e32 v55, 0x3aee, v53
	v_mul_f16_e32 v57, 0xbaee, v62
	v_mul_f16_e32 v60, -0.5, v18
	v_mul_f16_e32 v63, -0.5, v59
	v_pack_b32_f16 v11, v11, v40
	v_pack_b32_f16 v9, v13, v9
	v_add_f16_e32 v10, v56, v10
	v_fmac_f16_e32 v55, 0.5, v62
	v_fmac_f16_e32 v57, 0.5, v53
	v_fmac_f16_e32 v60, 0x3aee, v59
	v_fmac_f16_e32 v63, 0xbaee, v18
	ds_write2_b32 v23, v11, v9 offset1:100
	v_pack_b32_f16 v6, v7, v6
	v_mul_u32_u24_e32 v7, 0x960, v36
	v_lshlrev_b32_sdwa v11, v22, v37 dst_sel:DWORD dst_unused:UNUSED_PAD src0_sel:DWORD src1_sel:WORD_0
	v_add_f16_e32 v18, v50, v8
	v_add_f16_e32 v35, v48, v10
	v_sub_f16_e32 v8, v50, v8
	v_add_f16_e32 v50, v58, v55
	v_add_f16_e32 v13, v61, v57
	v_sub_f16_e32 v53, v58, v55
	v_add_f16_e32 v55, v54, v60
	v_sub_f16_e32 v10, v48, v10
	v_add_f16_e32 v40, v52, v63
	v_add3_u32 v7, 0, v7, v11
	v_pack_b32_f16 v9, v15, v19
	v_add_nc_u32_e32 v15, 0x200, v23
	v_pack_b32_f16 v11, v18, v35
	v_mul_u32_u24_e32 v18, 5, v24
	v_pack_b32_f16 v14, v14, v16
	v_pack_b32_f16 v12, v17, v12
	v_add_nc_u32_e32 v16, 0x400, v23
	v_pack_b32_f16 v13, v50, v13
	v_pack_b32_f16 v17, v55, v40
	;; [unrolled: 1-line block ×3, first 2 shown]
	v_add_nc_u32_e32 v10, 0x200, v7
	ds_write2_b32 v15, v9, v6 offset0:72 offset1:172
	ds_write2_b32 v16, v14, v12 offset0:144 offset1:244
	ds_write2_b32 v7, v11, v13 offset1:100
	ds_write2_b32 v10, v17, v8 offset0:72 offset1:172
	v_lshlrev_b32_e32 v6, 2, v18
	v_mul_i32_i24_e32 v19, 5, v28
	v_sub_f16_e32 v54, v54, v60
	v_sub_f16_e32 v48, v61, v57
	;; [unrolled: 1-line block ×3, first 2 shown]
	v_add_co_u32 v6, s0, s12, v6
	v_add_co_ci_u32_e64 v10, null, s13, 0, s0
	v_pack_b32_f16 v8, v53, v48
	v_add_co_u32 v14, s0, 0x800, v6
	v_add_co_ci_u32_e64 v15, s0, 0, v10, s0
	v_lshlrev_b64 v[10:11], 2, v[19:20]
	v_pack_b32_f16 v9, v54, v52
	v_add_nc_u32_e32 v7, 0x400, v7
	v_mul_i32_i24_e32 v19, 5, v34
	v_add_co_u32 v10, s0, s12, v10
	ds_write2_b32 v7, v8, v9 offset0:144 offset1:244
	s_waitcnt lgkmcnt(0)
	s_barrier
	buffer_gl0_inv
	global_load_dwordx4 v[6:9], v[14:15], off offset:312
	v_add_co_ci_u32_e64 v11, s0, s13, v11, s0
	v_add_co_u32 v16, s0, 0x800, v10
	v_lshlrev_b64 v[18:19], 2, v[19:20]
	v_add_co_ci_u32_e64 v17, s0, 0, v11, s0
	global_load_dwordx4 v[10:13], v[16:17], off offset:312
	v_add_co_u32 v18, s0, s12, v18
	v_add_co_ci_u32_e64 v19, s0, s13, v19, s0
	v_add_co_u32 v22, s0, 0x800, v18
	v_add_co_ci_u32_e64 v23, s0, 0, v19, s0
	v_mul_i32_i24_e32 v19, 5, v33
	global_load_dwordx4 v[63:66], v[22:23], off offset:312
	v_lshlrev_b64 v[18:19], 2, v[19:20]
	v_add_co_u32 v18, s0, s12, v18
	v_add_co_ci_u32_e64 v19, s0, s13, v19, s0
	v_add_co_u32 v35, s0, 0x800, v18
	v_add_co_ci_u32_e64 v36, s0, 0, v19, s0
	v_mul_i32_i24_e32 v19, 5, v32
	global_load_dwordx4 v[67:70], v[35:36], off offset:312
	v_lshlrev_b64 v[18:19], 2, v[19:20]
	v_add_co_u32 v18, s0, s12, v18
	v_add_co_ci_u32_e64 v19, s0, s13, v19, s0
	v_add_co_u32 v18, s0, 0x800, v18
	v_add_co_ci_u32_e64 v19, s0, 0, v19, s0
	s_clause 0x5
	global_load_dwordx4 v[71:74], v[18:19], off offset:312
	global_load_dword v61, v[14:15], off offset:328
	global_load_dword v60, v[16:17], off offset:328
	;; [unrolled: 1-line block ×5, first 2 shown]
	ds_read2_b32 v[75:76], v47 offset0:104 offset1:224
	ds_read2_b32 v[14:15], v39 offset0:88 offset1:208
	;; [unrolled: 1-line block ×6, first 2 shown]
	s_waitcnt lgkmcnt(5)
	v_lshrrev_b32_e32 v22, 16, v76
	s_waitcnt lgkmcnt(4)
	v_lshrrev_b32_e32 v23, 16, v14
	v_lshrrev_b32_e32 v29, 16, v15
	s_waitcnt lgkmcnt(2)
	v_lshrrev_b32_e32 v40, 16, v18
	s_waitcnt lgkmcnt(1)
	v_lshrrev_b32_e32 v37, 16, v78
	v_lshrrev_b32_e32 v52, 16, v19
	;; [unrolled: 1-line block ×3, first 2 shown]
	s_waitcnt vmcnt(9)
	v_mul_f16_sdwa v48, v6, v14 dst_sel:DWORD dst_unused:UNUSED_PAD src0_sel:WORD_1 src1_sel:DWORD
	v_mul_f16_sdwa v58, v7, v78 dst_sel:DWORD dst_unused:UNUSED_PAD src0_sel:WORD_1 src1_sel:DWORD
	;; [unrolled: 1-line block ×4, first 2 shown]
	v_mul_f16_sdwa v55, v76, v9 dst_sel:DWORD dst_unused:UNUSED_PAD src0_sel:DWORD src1_sel:WORD_1
	v_fmac_f16_e32 v48, v6, v23
	v_mul_f16_sdwa v23, v7, v37 dst_sel:DWORD dst_unused:UNUSED_PAD src0_sel:WORD_1 src1_sel:DWORD
	v_fmac_f16_e32 v58, v7, v37
	v_mul_f16_sdwa v37, v8, v40 dst_sel:DWORD dst_unused:UNUSED_PAD src0_sel:WORD_1 src1_sel:DWORD
	v_fma_f16 v50, v6, v14, -v39
	v_mul_f16_sdwa v6, v22, v9 dst_sel:DWORD dst_unused:UNUSED_PAD src0_sel:DWORD src1_sel:WORD_1
	v_fma_f16 v62, v7, v78, -v23
	s_waitcnt vmcnt(8)
	v_mul_f16_sdwa v7, v29, v10 dst_sel:DWORD dst_unused:UNUSED_PAD src0_sel:DWORD src1_sel:WORD_1
	v_fmac_f16_e32 v53, v8, v40
	v_fmac_f16_e32 v55, v22, v9
	v_fma_f16 v59, v8, v18, -v37
	v_fma_f16 v76, v76, v9, -v6
	s_waitcnt lgkmcnt(0)
	v_lshrrev_b32_e32 v8, 16, v35
	v_fma_f16 v37, v15, v10, -v7
	v_mul_f16_sdwa v9, v52, v12 dst_sel:DWORD dst_unused:UNUSED_PAD src0_sel:DWORD src1_sel:WORD_1
	ds_read2_b32 v[6:7], v2 offset0:72 offset1:192
	ds_read2_b32 v[1:2], v1 offset0:120 offset1:240
	v_mul_f16_sdwa v23, v15, v10 dst_sel:DWORD dst_unused:UNUSED_PAD src0_sel:DWORD src1_sel:WORD_1
	v_mul_f16_sdwa v40, v19, v12 dst_sel:DWORD dst_unused:UNUSED_PAD src0_sel:DWORD src1_sel:WORD_1
	v_fma_f16 v39, v19, v12, -v9
	v_mul_f16_sdwa v9, v8, v13 dst_sel:DWORD dst_unused:UNUSED_PAD src0_sel:DWORD src1_sel:WORD_1
	v_mul_f16_sdwa v47, v35, v13 dst_sel:DWORD dst_unused:UNUSED_PAD src0_sel:DWORD src1_sel:WORD_1
	;; [unrolled: 1-line block ×3, first 2 shown]
	v_fmac_f16_e32 v23, v29, v10
	v_mul_f16_sdwa v10, v38, v11 dst_sel:DWORD dst_unused:UNUSED_PAD src0_sel:DWORD src1_sel:WORD_1
	v_lshrrev_b32_e32 v14, 16, v17
	v_lshrrev_b32_e32 v18, 16, v36
	v_fmac_f16_e32 v40, v52, v12
	v_fma_f16 v52, v35, v13, -v9
	v_fmac_f16_e32 v47, v8, v13
	ds_read2_b32 v[8:9], v3 offset0:24 offset1:144
	v_fmac_f16_e32 v49, v38, v11
	v_fma_f16 v51, v16, v11, -v10
	s_waitcnt vmcnt(7)
	v_mul_f16_sdwa v10, v14, v64 dst_sel:DWORD dst_unused:UNUSED_PAD src0_sel:DWORD src1_sel:WORD_1
	v_mul_f16_sdwa v11, v18, v66 dst_sel:DWORD dst_unused:UNUSED_PAD src0_sel:DWORD src1_sel:WORD_1
	;; [unrolled: 1-line block ×3, first 2 shown]
	ds_read2_b32 v[3:4], v4 offset0:72 offset1:192
	v_mul_f16_sdwa v15, v36, v66 dst_sel:DWORD dst_unused:UNUSED_PAD src0_sel:DWORD src1_sel:WORD_1
	v_fma_f16 v22, v17, v64, -v10
	v_fma_f16 v35, v36, v66, -v11
	v_fmac_f16_e32 v29, v14, v64
	s_waitcnt lgkmcnt(3)
	v_lshrrev_b32_e32 v10, 16, v6
	v_mul_f16_sdwa v14, v6, v63 dst_sel:DWORD dst_unused:UNUSED_PAD src0_sel:DWORD src1_sel:WORD_1
	s_waitcnt lgkmcnt(2)
	v_lshrrev_b32_e32 v11, 16, v1
	v_lshrrev_b32_e32 v12, 16, v7
	v_fmac_f16_e32 v15, v18, v66
	v_lshrrev_b32_e32 v18, 16, v2
	v_fmac_f16_e32 v14, v10, v63
	v_mul_f16_sdwa v10, v10, v63 dst_sel:DWORD dst_unused:UNUSED_PAD src0_sel:DWORD src1_sel:WORD_1
	v_mul_f16_sdwa v13, v11, v65 dst_sel:DWORD dst_unused:UNUSED_PAD src0_sel:DWORD src1_sel:WORD_1
	s_waitcnt vmcnt(6)
	v_mul_f16_sdwa v17, v12, v67 dst_sel:DWORD dst_unused:UNUSED_PAD src0_sel:DWORD src1_sel:WORD_1
	v_mul_f16_sdwa v36, v1, v65 dst_sel:DWORD dst_unused:UNUSED_PAD src0_sel:DWORD src1_sel:WORD_1
	v_lshrrev_b32_e32 v19, 16, v77
	v_fma_f16 v16, v6, v63, -v10
	v_fma_f16 v38, v1, v65, -v13
	;; [unrolled: 1-line block ×3, first 2 shown]
	v_mul_f16_sdwa v1, v18, v69 dst_sel:DWORD dst_unused:UNUSED_PAD src0_sel:DWORD src1_sel:WORD_1
	s_waitcnt lgkmcnt(1)
	v_lshrrev_b32_e32 v17, 16, v8
	v_fmac_f16_e32 v36, v11, v65
	v_mul_f16_sdwa v7, v7, v67 dst_sel:DWORD dst_unused:UNUSED_PAD src0_sel:DWORD src1_sel:WORD_1
	v_mul_f16_sdwa v10, v2, v69 dst_sel:DWORD dst_unused:UNUSED_PAD src0_sel:DWORD src1_sel:WORD_1
	;; [unrolled: 1-line block ×3, first 2 shown]
	v_fma_f16 v11, v2, v69, -v1
	s_waitcnt lgkmcnt(0)
	v_lshrrev_b32_e32 v1, 16, v3
	v_mul_f16_sdwa v2, v17, v68 dst_sel:DWORD dst_unused:UNUSED_PAD src0_sel:DWORD src1_sel:WORD_1
	ds_read2_b32 v[63:64], v0 offset0:56 offset1:176
	v_fmac_f16_e32 v7, v12, v67
	v_fmac_f16_e32 v10, v18, v69
	;; [unrolled: 1-line block ×3, first 2 shown]
	v_mul_f16_sdwa v18, v1, v70 dst_sel:DWORD dst_unused:UNUSED_PAD src0_sel:DWORD src1_sel:WORD_1
	v_lshrrev_b32_e32 v67, 16, v9
	v_fma_f16 v17, v8, v68, -v2
	v_lshrrev_b32_e32 v68, 16, v75
	v_mul_f16_sdwa v12, v3, v70 dst_sel:DWORD dst_unused:UNUSED_PAD src0_sel:DWORD src1_sel:WORD_1
	v_fma_f16 v18, v3, v70, -v18
	s_waitcnt vmcnt(5)
	v_mul_f16_sdwa v2, v67, v72 dst_sel:DWORD dst_unused:UNUSED_PAD src0_sel:DWORD src1_sel:WORD_1
	v_lshrrev_b32_e32 v69, 16, v4
	v_mul_f16_sdwa v3, v68, v73 dst_sel:DWORD dst_unused:UNUSED_PAD src0_sel:DWORD src1_sel:WORD_1
	ds_read2_b32 v[65:66], v5 offset0:40 offset1:160
	v_fmac_f16_e32 v12, v1, v70
	v_fma_f16 v8, v9, v72, -v2
	v_mul_f16_sdwa v70, v69, v74 dst_sel:DWORD dst_unused:UNUSED_PAD src0_sel:DWORD src1_sel:WORD_1
	v_mul_f16_sdwa v5, v9, v72 dst_sel:DWORD dst_unused:UNUSED_PAD src0_sel:DWORD src1_sel:WORD_1
	v_fma_f16 v2, v75, v73, -v3
	v_mul_f16_sdwa v3, v75, v73 dst_sel:DWORD dst_unused:UNUSED_PAD src0_sel:DWORD src1_sel:WORD_1
	ds_read_b32 v75, v41 offset:13920
	v_mul_f16_sdwa v0, v19, v71 dst_sel:DWORD dst_unused:UNUSED_PAD src0_sel:DWORD src1_sel:WORD_1
	v_mul_f16_sdwa v1, v77, v71 dst_sel:DWORD dst_unused:UNUSED_PAD src0_sel:DWORD src1_sel:WORD_1
	v_fma_f16 v9, v4, v74, -v70
	v_mul_f16_sdwa v4, v4, v74 dst_sel:DWORD dst_unused:UNUSED_PAD src0_sel:DWORD src1_sel:WORD_1
	s_waitcnt lgkmcnt(2)
	v_lshrrev_b32_e32 v70, 16, v63
	v_fmac_f16_e32 v5, v67, v72
	s_waitcnt vmcnt(4)
	v_mul_f16_sdwa v67, v63, v61 dst_sel:DWORD dst_unused:UNUSED_PAD src0_sel:DWORD src1_sel:WORD_1
	v_fma_f16 v0, v77, v71, -v0
	v_fmac_f16_e32 v1, v19, v71
	v_lshrrev_b32_e32 v71, 16, v64
	v_mul_f16_sdwa v72, v70, v61 dst_sel:DWORD dst_unused:UNUSED_PAD src0_sel:DWORD src1_sel:WORD_1
	v_fmac_f16_e32 v3, v68, v73
	v_fmac_f16_e32 v4, v69, v74
	;; [unrolled: 1-line block ×3, first 2 shown]
	ds_read_b32 v69, v45
	ds_read_b32 v70, v46
	;; [unrolled: 1-line block ×5, first 2 shown]
	s_waitcnt vmcnt(3)
	v_mul_f16_sdwa v68, v71, v60 dst_sel:DWORD dst_unused:UNUSED_PAD src0_sel:DWORD src1_sel:WORD_1
	v_mul_f16_sdwa v77, v64, v60 dst_sel:DWORD dst_unused:UNUSED_PAD src0_sel:DWORD src1_sel:WORD_1
	v_fma_f16 v61, v63, v61, -v72
	s_waitcnt lgkmcnt(6)
	v_lshrrev_b32_e32 v63, 16, v65
	v_lshrrev_b32_e32 v72, 16, v66
	v_fma_f16 v64, v64, v60, -v68
	v_fmac_f16_e32 v77, v71, v60
	s_waitcnt vmcnt(2)
	v_mul_f16_sdwa v60, v65, v57 dst_sel:DWORD dst_unused:UNUSED_PAD src0_sel:DWORD src1_sel:WORD_1
	s_waitcnt lgkmcnt(5)
	v_lshrrev_b32_e32 v68, 16, v75
	v_mul_f16_sdwa v71, v63, v57 dst_sel:DWORD dst_unused:UNUSED_PAD src0_sel:DWORD src1_sel:WORD_1
	s_waitcnt vmcnt(1)
	v_mul_f16_sdwa v78, v72, v56 dst_sel:DWORD dst_unused:UNUSED_PAD src0_sel:DWORD src1_sel:WORD_1
	v_mul_f16_sdwa v79, v66, v56 dst_sel:DWORD dst_unused:UNUSED_PAD src0_sel:DWORD src1_sel:WORD_1
	v_fmac_f16_e32 v60, v63, v57
	s_waitcnt vmcnt(0)
	v_mul_f16_sdwa v63, v68, v54 dst_sel:DWORD dst_unused:UNUSED_PAD src0_sel:DWORD src1_sel:WORD_1
	v_fma_f16 v57, v65, v57, -v71
	v_fma_f16 v65, v66, v56, -v78
	v_mul_f16_sdwa v66, v75, v54 dst_sel:DWORD dst_unused:UNUSED_PAD src0_sel:DWORD src1_sel:WORD_1
	v_fmac_f16_e32 v79, v72, v56
	v_fma_f16 v56, v75, v54, -v63
	v_add_f16_e32 v63, v62, v76
	s_waitcnt lgkmcnt(0)
	v_lshrrev_b32_e32 v71, 16, v74
	v_fmac_f16_e32 v66, v68, v54
	v_add_f16_e32 v54, v58, v55
	v_add_f16_e32 v68, v74, v62
	v_fmac_f16_e32 v74, -0.5, v63
	v_add_f16_e32 v63, v71, v58
	v_sub_f16_e32 v58, v58, v55
	v_fmac_f16_e32 v71, -0.5, v54
	v_add_f16_e32 v54, v68, v76
	v_add_f16_e32 v68, v59, v61
	;; [unrolled: 1-line block ×3, first 2 shown]
	v_sub_f16_e32 v62, v62, v76
	v_fmamk_f16 v72, v58, 0x3aee, v74
	v_fmac_f16_e32 v74, 0xbaee, v58
	v_add_f16_e32 v58, v50, v59
	v_fmac_f16_e32 v50, -0.5, v68
	v_add_f16_e32 v68, v48, v53
	v_fmac_f16_e32 v48, -0.5, v75
	v_sub_f16_e32 v59, v59, v61
	v_sub_f16_e32 v53, v53, v67
	v_add_f16_e32 v55, v63, v55
	v_fmamk_f16 v63, v62, 0xbaee, v71
	v_fmac_f16_e32 v71, 0x3aee, v62
	v_fmamk_f16 v62, v59, 0xbaee, v48
	v_fmamk_f16 v75, v53, 0x3aee, v50
	v_fmac_f16_e32 v50, 0xbaee, v53
	v_fmac_f16_e32 v48, 0x3aee, v59
	v_add_f16_e32 v53, v58, v61
	v_mul_f16_e32 v58, 0x3aee, v62
	v_mul_f16_e32 v59, 0xbaee, v75
	v_mul_f16_e32 v61, -0.5, v50
	v_mul_f16_e32 v76, -0.5, v48
	v_add_f16_e32 v67, v68, v67
	v_fmac_f16_e32 v58, 0.5, v75
	v_fmac_f16_e32 v59, 0.5, v62
	v_fmac_f16_e32 v61, 0x3aee, v48
	v_fmac_f16_e32 v76, 0xbaee, v50
	v_add_f16_e32 v48, v54, v53
	v_sub_f16_e32 v50, v54, v53
	v_add_f16_e32 v53, v72, v58
	v_sub_f16_e32 v54, v72, v58
	;; [unrolled: 2-line block ×3, first 2 shown]
	v_add_f16_e32 v68, v51, v52
	v_lshrrev_b32_e32 v72, 16, v70
	v_add_f16_e32 v74, v49, v47
	v_add_f16_e32 v75, v70, v51
	;; [unrolled: 1-line block ×3, first 2 shown]
	v_sub_f16_e32 v55, v55, v67
	v_add_f16_e32 v67, v63, v59
	v_sub_f16_e32 v59, v63, v59
	v_add_f16_e32 v63, v71, v76
	v_sub_f16_e32 v71, v71, v76
	v_fmac_f16_e32 v70, -0.5, v68
	v_add_f16_e32 v68, v72, v49
	v_sub_f16_e32 v49, v49, v47
	v_fmac_f16_e32 v72, -0.5, v74
	v_add_f16_e32 v74, v75, v52
	v_sub_f16_e32 v51, v51, v52
	v_add_f16_e32 v52, v39, v64
	v_add_f16_e32 v76, v40, v77
	v_fmamk_f16 v75, v49, 0x3aee, v70
	v_fmac_f16_e32 v70, 0xbaee, v49
	v_add_f16_e32 v49, v37, v39
	v_fmac_f16_e32 v37, -0.5, v52
	v_add_f16_e32 v52, v23, v40
	v_fmac_f16_e32 v23, -0.5, v76
	v_sub_f16_e32 v39, v39, v64
	v_sub_f16_e32 v40, v40, v77
	v_add_f16_e32 v47, v68, v47
	v_fmamk_f16 v68, v51, 0xbaee, v72
	v_fmac_f16_e32 v72, 0x3aee, v51
	v_fmamk_f16 v51, v39, 0xbaee, v23
	v_fmamk_f16 v76, v40, 0x3aee, v37
	v_fmac_f16_e32 v37, 0xbaee, v40
	v_fmac_f16_e32 v23, 0x3aee, v39
	v_add_f16_e32 v39, v49, v64
	v_mul_f16_e32 v40, 0x3aee, v51
	v_mul_f16_e32 v49, 0xbaee, v76
	v_mul_f16_e32 v64, -0.5, v37
	v_mul_f16_e32 v78, -0.5, v23
	v_add_f16_e32 v52, v52, v77
	v_fmac_f16_e32 v40, 0.5, v76
	v_fmac_f16_e32 v49, 0.5, v51
	v_fmac_f16_e32 v64, 0x3aee, v23
	v_fmac_f16_e32 v78, 0xbaee, v37
	v_add_f16_e32 v23, v74, v39
	v_sub_f16_e32 v37, v74, v39
	v_add_f16_e32 v39, v75, v40
	v_sub_f16_e32 v40, v75, v40
	v_add_f16_e32 v74, v22, v35
	v_lshrrev_b32_e32 v75, 16, v69
	v_add_f16_e32 v76, v29, v15
	v_add_f16_e32 v77, v69, v22
	;; [unrolled: 1-line block ×3, first 2 shown]
	v_sub_f16_e32 v64, v70, v64
	v_add_f16_e32 v70, v47, v52
	v_sub_f16_e32 v47, v47, v52
	v_add_f16_e32 v52, v68, v49
	;; [unrolled: 2-line block ×3, first 2 shown]
	v_sub_f16_e32 v72, v72, v78
	v_fmac_f16_e32 v69, -0.5, v74
	v_add_f16_e32 v74, v75, v29
	v_sub_f16_e32 v29, v29, v15
	v_fmac_f16_e32 v75, -0.5, v76
	v_add_f16_e32 v76, v77, v35
	v_sub_f16_e32 v22, v22, v35
	v_add_f16_e32 v35, v38, v57
	v_add_f16_e32 v78, v36, v60
	v_fmamk_f16 v77, v29, 0x3aee, v69
	v_fmac_f16_e32 v69, 0xbaee, v29
	v_add_f16_e32 v29, v16, v38
	v_fmac_f16_e32 v16, -0.5, v35
	v_add_f16_e32 v35, v14, v36
	v_fmac_f16_e32 v14, -0.5, v78
	v_sub_f16_e32 v38, v38, v57
	v_sub_f16_e32 v36, v36, v60
	v_add_f16_e32 v15, v74, v15
	v_fmamk_f16 v74, v22, 0xbaee, v75
	v_fmac_f16_e32 v75, 0x3aee, v22
	v_fmamk_f16 v22, v38, 0xbaee, v14
	v_fmamk_f16 v78, v36, 0x3aee, v16
	v_fmac_f16_e32 v16, 0xbaee, v36
	v_fmac_f16_e32 v14, 0x3aee, v38
	v_add_f16_e32 v29, v29, v57
	v_mul_f16_e32 v36, 0x3aee, v22
	v_mul_f16_e32 v38, 0xbaee, v78
	v_mul_f16_e32 v57, -0.5, v16
	v_mul_f16_e32 v80, -0.5, v14
	v_add_f16_e32 v35, v35, v60
	v_fmac_f16_e32 v36, 0.5, v78
	v_fmac_f16_e32 v38, 0.5, v22
	v_fmac_f16_e32 v57, 0x3aee, v14
	v_fmac_f16_e32 v80, 0xbaee, v16
	v_add_f16_e32 v14, v76, v29
	v_sub_f16_e32 v16, v76, v29
	v_add_f16_e32 v22, v77, v36
	v_sub_f16_e32 v29, v77, v36
	;; [unrolled: 2-line block ×4, first 2 shown]
	v_add_f16_e32 v74, v17, v18
	v_lshrrev_b32_e32 v76, 16, v73
	v_add_f16_e32 v77, v13, v12
	v_add_f16_e32 v78, v73, v17
	;; [unrolled: 1-line block ×3, first 2 shown]
	v_sub_f16_e32 v57, v69, v57
	v_add_f16_e32 v69, v75, v80
	v_sub_f16_e32 v75, v75, v80
	v_fmac_f16_e32 v73, -0.5, v74
	v_add_f16_e32 v74, v76, v13
	v_sub_f16_e32 v13, v13, v12
	v_fmac_f16_e32 v76, -0.5, v77
	v_add_f16_e32 v77, v78, v18
	v_sub_f16_e32 v17, v17, v18
	v_add_f16_e32 v18, v11, v65
	v_add_f16_e32 v80, v10, v79
	v_fmamk_f16 v78, v13, 0x3aee, v73
	v_fmac_f16_e32 v73, 0xbaee, v13
	v_add_f16_e32 v13, v6, v11
	v_fmac_f16_e32 v6, -0.5, v18
	v_add_f16_e32 v18, v7, v10
	v_fmac_f16_e32 v7, -0.5, v80
	v_sub_f16_e32 v11, v11, v65
	v_sub_f16_e32 v10, v10, v79
	v_add_f16_e32 v12, v74, v12
	v_fmamk_f16 v74, v17, 0xbaee, v76
	v_fmac_f16_e32 v76, 0x3aee, v17
	v_fmamk_f16 v17, v11, 0xbaee, v7
	v_fmamk_f16 v80, v10, 0x3aee, v6
	v_fmac_f16_e32 v6, 0xbaee, v10
	v_fmac_f16_e32 v7, 0x3aee, v11
	v_add_f16_e32 v10, v13, v65
	v_mul_f16_e32 v11, 0x3aee, v17
	v_mul_f16_e32 v13, 0xbaee, v80
	v_mul_f16_e32 v65, -0.5, v6
	v_mul_f16_e32 v81, -0.5, v7
	v_add_f16_e32 v18, v18, v79
	v_fmac_f16_e32 v11, 0.5, v80
	v_add_f16_e32 v79, v5, v4
	v_fmac_f16_e32 v65, 0x3aee, v7
	v_fmac_f16_e32 v81, 0xbaee, v6
	v_add_f16_e32 v6, v77, v10
	v_sub_f16_e32 v7, v77, v10
	v_add_f16_e32 v10, v78, v11
	v_sub_f16_e32 v11, v78, v11
	v_add_f16_e32 v77, v8, v9
	v_lshrrev_b32_e32 v78, 16, v19
	v_add_f16_e32 v80, v19, v8
	v_fmac_f16_e32 v13, 0.5, v17
	v_sub_f16_e32 v8, v8, v9
	v_fmac_f16_e32 v19, -0.5, v77
	v_add_f16_e32 v77, v78, v5
	v_sub_f16_e32 v5, v5, v4
	v_fmac_f16_e32 v78, -0.5, v79
	v_add_f16_e32 v79, v80, v9
	v_add_f16_e32 v9, v2, v56
	;; [unrolled: 1-line block ×3, first 2 shown]
	v_sub_f16_e32 v65, v73, v65
	v_add_f16_e32 v73, v12, v18
	v_sub_f16_e32 v12, v12, v18
	v_add_f16_e32 v18, v74, v13
	;; [unrolled: 2-line block ×4, first 2 shown]
	v_fmamk_f16 v80, v5, 0x3aee, v19
	v_fmac_f16_e32 v19, 0xbaee, v5
	v_add_f16_e32 v5, v0, v2
	v_fmac_f16_e32 v0, -0.5, v9
	v_add_f16_e32 v9, v1, v3
	v_sub_f16_e32 v3, v3, v66
	v_fmac_f16_e32 v1, -0.5, v81
	v_sub_f16_e32 v2, v2, v56
	v_pack_b32_f16 v48, v48, v62
	v_pack_b32_f16 v53, v53, v67
	v_pack_b32_f16 v58, v58, v63
	v_pack_b32_f16 v50, v50, v55
	v_fmamk_f16 v81, v3, 0x3aee, v0
	v_fmac_f16_e32 v0, 0xbaee, v3
	v_pack_b32_f16 v54, v54, v59
	v_add_f16_e32 v4, v77, v4
	v_fmamk_f16 v77, v8, 0xbaee, v78
	v_fmac_f16_e32 v78, 0x3aee, v8
	v_fmamk_f16 v8, v2, 0xbaee, v1
	s_barrier
	buffer_gl0_inv
	ds_write_b32 v41, v48
	ds_write_b32 v41, v53 offset:2400
	ds_write_b32 v41, v58 offset:4800
	;; [unrolled: 1-line block ×4, first 2 shown]
	v_pack_b32_f16 v48, v61, v71
	v_fmac_f16_e32 v1, 0x3aee, v2
	v_pack_b32_f16 v23, v23, v70
	v_pack_b32_f16 v39, v39, v52
	;; [unrolled: 1-line block ×3, first 2 shown]
	v_add_f16_e32 v2, v5, v56
	v_mul_f16_e32 v56, -0.5, v0
	v_pack_b32_f16 v37, v37, v47
	v_mul_f16_e32 v3, 0x3aee, v8
	v_mul_f16_e32 v5, 0xbaee, v81
	ds_write_b32 v41, v48 offset:12000
	ds_write_b32 v46, v23
	ds_write_b32 v46, v39 offset:2400
	ds_write_b32 v46, v50 offset:4800
	ds_write_b32 v46, v37 offset:7200
	v_pack_b32_f16 v23, v40, v49
	v_mul_f16_e32 v82, -0.5, v1
	v_pack_b32_f16 v37, v64, v72
	v_pack_b32_f16 v14, v14, v60
	;; [unrolled: 1-line block ×3, first 2 shown]
	v_add_f16_e32 v9, v9, v66
	v_fmac_f16_e32 v56, 0x3aee, v1
	v_pack_b32_f16 v35, v36, v69
	v_fmac_f16_e32 v3, 0.5, v81
	v_fmac_f16_e32 v5, 0.5, v8
	ds_write_b32 v46, v23 offset:9600
	ds_write_b32 v46, v37 offset:12000
	ds_write_b32 v45, v14
	ds_write_b32 v45, v22 offset:2400
	ds_write_b32 v45, v35 offset:4800
	v_pack_b32_f16 v14, v16, v15
	v_fmac_f16_e32 v82, 0xbaee, v0
	v_pack_b32_f16 v15, v29, v38
	v_pack_b32_f16 v16, v57, v75
	;; [unrolled: 1-line block ×3, first 2 shown]
	v_add_f16_e32 v0, v79, v2
	v_add_f16_e32 v8, v19, v56
	v_sub_f16_e32 v19, v19, v56
	v_add_f16_e32 v56, v4, v9
	v_pack_b32_f16 v10, v10, v18
	v_sub_f16_e32 v1, v79, v2
	v_add_f16_e32 v2, v80, v3
	v_sub_f16_e32 v4, v4, v9
	v_add_f16_e32 v9, v77, v5
	ds_write_b32 v45, v14 offset:7200
	ds_write_b32 v45, v15 offset:9600
	ds_write_b32 v45, v16 offset:12000
	ds_write_b32 v44, v6
	ds_write_b32 v44, v10 offset:2400
	v_pack_b32_f16 v6, v17, v74
	v_add_f16_e32 v66, v78, v82
	v_pack_b32_f16 v7, v7, v12
	v_pack_b32_f16 v10, v11, v13
	v_sub_f16_e32 v3, v80, v3
	v_sub_f16_e32 v5, v77, v5
	v_pack_b32_f16 v11, v65, v76
	v_sub_f16_e32 v77, v78, v82
	v_pack_b32_f16 v0, v0, v56
	ds_write_b32 v44, v6 offset:4800
	ds_write_b32 v44, v7 offset:7200
	;; [unrolled: 1-line block ×4, first 2 shown]
	ds_write_b32 v21, v0
	v_pack_b32_f16 v0, v2, v9
	v_pack_b32_f16 v2, v8, v66
	v_pack_b32_f16 v1, v1, v4
	v_pack_b32_f16 v3, v3, v5
	v_pack_b32_f16 v4, v19, v77
	ds_write_b32 v21, v0 offset:2400
	ds_write_b32 v21, v2 offset:4800
	;; [unrolled: 1-line block ×5, first 2 shown]
	s_waitcnt lgkmcnt(0)
	s_barrier
	buffer_gl0_inv
	ds_read_b32 v6, v41
	v_sub_nc_u32_e32 v0, 0, v25
                                        ; implicit-def: $vgpr4
                                        ; implicit-def: $vgpr3
                                        ; implicit-def: $vgpr2
	v_cmpx_ne_u32_e32 0, v24
	s_xor_b32 s5, exec_lo, s5
	s_cbranch_execz .LBB0_15
; %bb.14:
	v_mov_b32_e32 v25, v20
	v_lshlrev_b64 v[1:2], 2, v[24:25]
	v_add_co_u32 v1, s0, s1, v1
	v_add_co_ci_u32_e64 v2, s0, s4, v2, s0
	global_load_dword v1, v[1:2], off
	ds_read_b32 v2, v0 offset:14400
	s_waitcnt lgkmcnt(0)
	v_sub_f16_e32 v3, v6, v2
	v_add_f16_sdwa v4, v2, v6 dst_sel:DWORD dst_unused:UNUSED_PAD src0_sel:WORD_1 src1_sel:WORD_1
	v_sub_f16_sdwa v5, v6, v2 dst_sel:DWORD dst_unused:UNUSED_PAD src0_sel:WORD_1 src1_sel:WORD_1
	v_add_f16_e32 v2, v2, v6
	v_mul_f16_e32 v7, 0.5, v3
	v_mul_f16_e32 v4, 0.5, v4
	;; [unrolled: 1-line block ×3, first 2 shown]
	s_waitcnt vmcnt(0)
	v_lshrrev_b32_e32 v3, 16, v1
	v_mul_f16_e32 v6, v3, v7
	v_fma_f16 v8, v4, v3, v5
	v_fma_f16 v5, v4, v3, -v5
	v_fma_f16 v9, 0.5, v2, v6
	v_fma_f16 v6, v2, 0.5, -v6
	v_fma_f16 v2, -v1, v7, v8
	v_fmac_f16_e32 v9, v1, v4
	v_fma_f16 v3, -v1, v4, v6
	v_fma_f16 v4, -v1, v7, v5
                                        ; implicit-def: $vgpr6
	ds_write_b16 v41, v9
.LBB0_15:
	s_or_saveexec_b32 s0, s5
	v_mul_i32_i24_e32 v5, 0xffffffdc, v28
	v_mul_i32_i24_e32 v1, 0xffffffdc, v34
	s_xor_b32 exec_lo, exec_lo, s0
	s_cbranch_execz .LBB0_17
; %bb.16:
	v_mov_b32_e32 v2, 0
	s_waitcnt lgkmcnt(0)
	v_add_f16_sdwa v7, v6, v6 dst_sel:DWORD dst_unused:UNUSED_PAD src0_sel:WORD_1 src1_sel:DWORD
	v_sub_f16_sdwa v3, v6, v6 dst_sel:DWORD dst_unused:UNUSED_PAD src0_sel:DWORD src1_sel:WORD_1
	ds_read_u16 v4, v2 offset:7202
	s_waitcnt lgkmcnt(0)
	v_xor_b32_e32 v6, 0x8000, v4
	v_mov_b32_e32 v4, 0
	ds_write_b16 v41, v7
	ds_write_b16 v2, v6 offset:7202
.LBB0_17:
	s_or_b32 exec_lo, exec_lo, s0
	v_mov_b32_e32 v29, 0
	v_add_nc_u32_e32 v5, v42, v5
	ds_write_b16 v41, v2 offset:2
	ds_read_b32 v12, v0 offset:13920
	s_waitcnt lgkmcnt(2)
	v_lshlrev_b64 v[6:7], 2, v[28:29]
	v_mov_b32_e32 v35, v29
	v_add_nc_u32_e32 v28, 0x258, v24
	v_add_co_u32 v6, s0, s1, v6
	v_add_co_ci_u32_e64 v7, s0, s4, v7, s0
	global_load_dword v8, v[6:7], off
	v_lshlrev_b64 v[6:7], 2, v[34:35]
	v_mov_b32_e32 v34, v29
	v_add_co_u32 v6, s0, s1, v6
	v_add_co_ci_u32_e64 v7, s0, s4, v7, s0
	global_load_dword v9, v[6:7], off
	v_lshlrev_b64 v[6:7], 2, v[33:34]
	v_mov_b32_e32 v33, v29
	v_add_co_u32 v6, s0, s1, v6
	v_add_co_ci_u32_e64 v7, s0, s4, v7, s0
	global_load_dword v10, v[6:7], off
	v_lshlrev_b64 v[6:7], 2, v[32:33]
	v_add_co_u32 v6, s0, s1, v6
	v_add_co_ci_u32_e64 v7, s0, s4, v7, s0
	global_load_dword v11, v[6:7], off
	v_lshlrev_b64 v[6:7], 2, v[28:29]
	v_add_nc_u32_e32 v28, 0x2d0, v24
	v_add_co_u32 v6, s0, s1, v6
	v_add_co_ci_u32_e64 v7, s0, s4, v7, s0
	global_load_dword v6, v[6:7], off
	v_perm_b32 v7, v4, v3, 0x5040100
	v_lshlrev_b64 v[3:4], 2, v[28:29]
	v_add_nc_u32_e32 v28, 0x348, v24
	ds_write_b32 v0, v7 offset:14400
	ds_read_b32 v7, v5
	v_add_co_u32 v2, s0, s1, v3
	v_add_co_ci_u32_e64 v3, s0, s4, v4, s0
	global_load_dword v13, v[2:3], off
	s_waitcnt lgkmcnt(0)
	v_pk_add_f16 v2, v7, v12 neg_lo:[0,1] neg_hi:[0,1]
	v_pk_add_f16 v3, v7, v12
	v_bfi_b32 v4, 0xffff, v2, v3
	v_bfi_b32 v2, 0xffff, v3, v2
	v_pk_mul_f16 v3, v4, 0.5 op_sel_hi:[1,0]
	v_pk_mul_f16 v2, v2, 0.5 op_sel_hi:[1,0]
	s_waitcnt vmcnt(5)
	v_pk_fma_f16 v4, v8, v3, v2 op_sel:[1,0,0]
	v_pk_mul_f16 v7, v8, v3 op_sel_hi:[0,1]
	v_pk_fma_f16 v12, v8, v3, v2 op_sel:[1,0,0] neg_lo:[1,0,0] neg_hi:[1,0,0]
	v_pk_fma_f16 v2, v8, v3, v2 op_sel:[1,0,0] neg_lo:[0,0,1] neg_hi:[0,0,1]
	v_pk_add_f16 v3, v4, v7 op_sel:[0,1] op_sel_hi:[1,0]
	v_pk_add_f16 v4, v4, v7 op_sel:[0,1] op_sel_hi:[1,0] neg_lo:[0,1] neg_hi:[0,1]
	v_pk_add_f16 v8, v12, v7 op_sel:[0,1] op_sel_hi:[1,0] neg_lo:[0,1] neg_hi:[0,1]
	;; [unrolled: 1-line block ×3, first 2 shown]
	v_add_nc_u32_e32 v7, v43, v1
	v_bfi_b32 v3, 0xffff, v3, v4
	v_bfi_b32 v4, 0xffff, v8, v2
	v_lshlrev_b64 v[1:2], 2, v[28:29]
	ds_write_b32 v5, v3
	ds_write_b32 v0, v4 offset:13920
	ds_read_b32 v3, v7
	ds_read_b32 v4, v0 offset:13440
	v_add_nc_u32_e32 v28, 0x3c0, v24
	v_add_co_u32 v1, s0, s1, v1
	v_add_co_ci_u32_e64 v2, s0, s4, v2, s0
	global_load_dword v5, v[1:2], off
	s_waitcnt lgkmcnt(0)
	v_pk_add_f16 v1, v3, v4 neg_lo:[0,1] neg_hi:[0,1]
	v_pk_add_f16 v2, v3, v4
	v_bfi_b32 v3, 0xffff, v1, v2
	v_bfi_b32 v1, 0xffff, v2, v1
	v_pk_mul_f16 v2, v3, 0.5 op_sel_hi:[1,0]
	v_pk_mul_f16 v1, v1, 0.5 op_sel_hi:[1,0]
	s_waitcnt vmcnt(5)
	v_pk_mul_f16 v4, v9, v2 op_sel_hi:[0,1]
	v_pk_fma_f16 v3, v9, v2, v1 op_sel:[1,0,0]
	v_pk_fma_f16 v8, v9, v2, v1 op_sel:[1,0,0] neg_lo:[1,0,0] neg_hi:[1,0,0]
	v_pk_fma_f16 v1, v9, v2, v1 op_sel:[1,0,0] neg_lo:[0,0,1] neg_hi:[0,0,1]
	v_pk_add_f16 v2, v3, v4 op_sel:[0,1] op_sel_hi:[1,0]
	v_pk_add_f16 v3, v3, v4 op_sel:[0,1] op_sel_hi:[1,0] neg_lo:[0,1] neg_hi:[0,1]
	v_pk_add_f16 v8, v8, v4 op_sel:[0,1] op_sel_hi:[1,0] neg_lo:[0,1] neg_hi:[0,1]
	;; [unrolled: 1-line block ×3, first 2 shown]
	v_bfi_b32 v3, 0xffff, v2, v3
	v_bfi_b32 v4, 0xffff, v8, v1
	v_lshlrev_b64 v[1:2], 2, v[28:29]
	ds_write_b32 v7, v3
	ds_write_b32 v0, v4 offset:13440
	ds_read_b32 v7, v44
	ds_read_b32 v8, v0 offset:12960
	v_add_nc_u32_e32 v28, 0x438, v24
	v_add_co_u32 v1, s0, s1, v1
	v_add_co_ci_u32_e64 v2, s0, s4, v2, s0
	global_load_dword v9, v[1:2], off
	v_lshlrev_b64 v[1:2], 2, v[28:29]
	v_add_nc_u32_e32 v28, 0x4b0, v24
	v_lshlrev_b64 v[3:4], 2, v[28:29]
	v_add_co_u32 v1, s0, s1, v1
	v_add_co_ci_u32_e64 v2, s0, s4, v2, s0
	s_waitcnt lgkmcnt(0)
	v_pk_add_f16 v12, v7, v8 neg_lo:[0,1] neg_hi:[0,1]
	v_pk_add_f16 v7, v7, v8
	v_add_co_u32 v3, s0, s1, v3
	v_add_co_ci_u32_e64 v4, s0, s4, v4, s0
	v_bfi_b32 v8, 0xffff, v12, v7
	v_bfi_b32 v7, 0xffff, v7, v12
	s_clause 0x1
	global_load_dword v12, v[1:2], off
	global_load_dword v3, v[3:4], off
	v_add_nc_u32_e32 v28, 0x528, v24
	v_pk_mul_f16 v8, v8, 0.5 op_sel_hi:[1,0]
	v_pk_mul_f16 v7, v7, 0.5 op_sel_hi:[1,0]
	s_waitcnt vmcnt(7)
	v_pk_mul_f16 v2, v10, v8 op_sel_hi:[0,1]
	v_pk_fma_f16 v1, v10, v8, v7 op_sel:[1,0,0]
	v_pk_fma_f16 v4, v10, v8, v7 op_sel:[1,0,0] neg_lo:[1,0,0] neg_hi:[1,0,0]
	v_pk_fma_f16 v7, v10, v8, v7 op_sel:[1,0,0] neg_lo:[0,0,1] neg_hi:[0,0,1]
	v_pk_add_f16 v8, v1, v2 op_sel:[0,1] op_sel_hi:[1,0]
	v_pk_add_f16 v1, v1, v2 op_sel:[0,1] op_sel_hi:[1,0] neg_lo:[0,1] neg_hi:[0,1]
	v_pk_add_f16 v4, v4, v2 op_sel:[0,1] op_sel_hi:[1,0] neg_lo:[0,1] neg_hi:[0,1]
	;; [unrolled: 1-line block ×3, first 2 shown]
	v_bfi_b32 v1, 0xffff, v8, v1
	v_bfi_b32 v2, 0xffff, v4, v2
	ds_write_b32 v44, v1
	ds_write_b32 v0, v2 offset:12960
	ds_read_b32 v1, v21
	ds_read_b32 v2, v0 offset:12480
	s_waitcnt lgkmcnt(0)
	v_pk_add_f16 v4, v1, v2 neg_lo:[0,1] neg_hi:[0,1]
	v_pk_add_f16 v1, v1, v2
	v_bfi_b32 v2, 0xffff, v4, v1
	v_bfi_b32 v1, 0xffff, v1, v4
	v_pk_mul_f16 v2, v2, 0.5 op_sel_hi:[1,0]
	v_pk_mul_f16 v1, v1, 0.5 op_sel_hi:[1,0]
	s_waitcnt vmcnt(6)
	v_pk_mul_f16 v7, v11, v2 op_sel_hi:[0,1]
	v_pk_fma_f16 v4, v11, v2, v1 op_sel:[1,0,0]
	v_pk_fma_f16 v8, v11, v2, v1 op_sel:[1,0,0] neg_lo:[1,0,0] neg_hi:[1,0,0]
	v_pk_fma_f16 v1, v11, v2, v1 op_sel:[1,0,0] neg_lo:[0,0,1] neg_hi:[0,0,1]
	v_pk_add_f16 v2, v4, v7 op_sel:[0,1] op_sel_hi:[1,0]
	v_pk_add_f16 v4, v4, v7 op_sel:[0,1] op_sel_hi:[1,0] neg_lo:[0,1] neg_hi:[0,1]
	v_pk_add_f16 v8, v8, v7 op_sel:[0,1] op_sel_hi:[1,0] neg_lo:[0,1] neg_hi:[0,1]
	;; [unrolled: 1-line block ×3, first 2 shown]
	v_bfi_b32 v2, 0xffff, v2, v4
	v_bfi_b32 v1, 0xffff, v8, v1
	ds_write_b32 v21, v2
	ds_write_b32 v0, v1 offset:12480
	ds_read_b32 v1, v41 offset:2400
	ds_read_b32 v2, v0 offset:12000
	s_waitcnt lgkmcnt(0)
	v_pk_add_f16 v4, v1, v2 neg_lo:[0,1] neg_hi:[0,1]
	v_pk_add_f16 v1, v1, v2
	v_bfi_b32 v2, 0xffff, v4, v1
	v_bfi_b32 v1, 0xffff, v1, v4
	v_pk_mul_f16 v2, v2, 0.5 op_sel_hi:[1,0]
	v_pk_mul_f16 v1, v1, 0.5 op_sel_hi:[1,0]
	s_waitcnt vmcnt(5)
	v_pk_mul_f16 v7, v6, v2 op_sel_hi:[0,1]
	v_pk_fma_f16 v4, v6, v2, v1 op_sel:[1,0,0]
	v_pk_fma_f16 v8, v6, v2, v1 op_sel:[1,0,0] neg_lo:[1,0,0] neg_hi:[1,0,0]
	v_pk_fma_f16 v1, v6, v2, v1 op_sel:[1,0,0] neg_lo:[0,0,1] neg_hi:[0,0,1]
	v_pk_add_f16 v2, v4, v7 op_sel:[0,1] op_sel_hi:[1,0]
	v_pk_add_f16 v4, v4, v7 op_sel:[0,1] op_sel_hi:[1,0] neg_lo:[0,1] neg_hi:[0,1]
	v_pk_add_f16 v6, v8, v7 op_sel:[0,1] op_sel_hi:[1,0] neg_lo:[0,1] neg_hi:[0,1]
	;; [unrolled: 1-line block ×3, first 2 shown]
	v_bfi_b32 v4, 0xffff, v2, v4
	v_bfi_b32 v6, 0xffff, v6, v1
	v_lshlrev_b64 v[1:2], 2, v[28:29]
	ds_write_b32 v41, v4 offset:2400
	ds_write_b32 v0, v6 offset:12000
	ds_read_b32 v4, v41 offset:2880
	ds_read_b32 v6, v0 offset:11520
	v_add_nc_u32_e32 v28, 0x5a0, v24
	v_add_co_u32 v1, s0, s1, v1
	v_add_co_ci_u32_e64 v2, s0, s4, v2, s0
	global_load_dword v7, v[1:2], off
	s_waitcnt lgkmcnt(0)
	v_pk_add_f16 v1, v4, v6 neg_lo:[0,1] neg_hi:[0,1]
	v_pk_add_f16 v2, v4, v6
	v_bfi_b32 v4, 0xffff, v1, v2
	v_bfi_b32 v1, 0xffff, v2, v1
	v_pk_mul_f16 v2, v4, 0.5 op_sel_hi:[1,0]
	v_pk_mul_f16 v1, v1, 0.5 op_sel_hi:[1,0]
	s_waitcnt vmcnt(5)
	v_pk_mul_f16 v6, v13, v2 op_sel_hi:[0,1]
	v_pk_fma_f16 v4, v13, v2, v1 op_sel:[1,0,0]
	v_pk_fma_f16 v8, v13, v2, v1 op_sel:[1,0,0] neg_lo:[1,0,0] neg_hi:[1,0,0]
	v_pk_fma_f16 v1, v13, v2, v1 op_sel:[1,0,0] neg_lo:[0,0,1] neg_hi:[0,0,1]
	v_pk_add_f16 v2, v4, v6 op_sel:[0,1] op_sel_hi:[1,0]
	v_pk_add_f16 v4, v4, v6 op_sel:[0,1] op_sel_hi:[1,0] neg_lo:[0,1] neg_hi:[0,1]
	v_pk_add_f16 v8, v8, v6 op_sel:[0,1] op_sel_hi:[1,0] neg_lo:[0,1] neg_hi:[0,1]
	;; [unrolled: 1-line block ×3, first 2 shown]
	v_bfi_b32 v4, 0xffff, v2, v4
	v_bfi_b32 v6, 0xffff, v8, v1
	v_lshlrev_b64 v[1:2], 2, v[28:29]
	ds_write_b32 v41, v4 offset:2880
	ds_write_b32 v0, v6 offset:11520
	ds_read_b32 v4, v41 offset:3360
	ds_read_b32 v6, v0 offset:11040
	v_add_nc_u32_e32 v28, 0x618, v24
	v_add_co_u32 v1, s0, s1, v1
	v_add_co_ci_u32_e64 v2, s0, s4, v2, s0
	global_load_dword v8, v[1:2], off
	s_waitcnt lgkmcnt(0)
	v_pk_add_f16 v1, v4, v6 neg_lo:[0,1] neg_hi:[0,1]
	v_pk_add_f16 v2, v4, v6
	v_bfi_b32 v4, 0xffff, v1, v2
	v_bfi_b32 v1, 0xffff, v2, v1
	v_pk_mul_f16 v2, v4, 0.5 op_sel_hi:[1,0]
	v_pk_mul_f16 v1, v1, 0.5 op_sel_hi:[1,0]
	s_waitcnt vmcnt(5)
	v_pk_fma_f16 v4, v5, v2, v1 op_sel:[1,0,0]
	v_pk_mul_f16 v6, v5, v2 op_sel_hi:[0,1]
	v_pk_fma_f16 v10, v5, v2, v1 op_sel:[1,0,0] neg_lo:[1,0,0] neg_hi:[1,0,0]
	v_pk_fma_f16 v1, v5, v2, v1 op_sel:[1,0,0] neg_lo:[0,0,1] neg_hi:[0,0,1]
	v_pk_add_f16 v2, v4, v6 op_sel:[0,1] op_sel_hi:[1,0]
	v_pk_add_f16 v4, v4, v6 op_sel:[0,1] op_sel_hi:[1,0] neg_lo:[0,1] neg_hi:[0,1]
	v_pk_add_f16 v5, v10, v6 op_sel:[0,1] op_sel_hi:[1,0] neg_lo:[0,1] neg_hi:[0,1]
	;; [unrolled: 1-line block ×3, first 2 shown]
	v_bfi_b32 v4, 0xffff, v2, v4
	v_bfi_b32 v5, 0xffff, v5, v1
	v_lshlrev_b64 v[1:2], 2, v[28:29]
	ds_write_b32 v41, v4 offset:3360
	ds_write_b32 v0, v5 offset:11040
	ds_read_b32 v4, v41 offset:3840
	ds_read_b32 v5, v0 offset:10560
	v_add_nc_u32_e32 v28, 0x690, v24
	v_add_co_u32 v1, s0, s1, v1
	v_add_co_ci_u32_e64 v2, s0, s4, v2, s0
	global_load_dword v6, v[1:2], off
	s_waitcnt lgkmcnt(0)
	v_pk_add_f16 v1, v4, v5 neg_lo:[0,1] neg_hi:[0,1]
	v_pk_add_f16 v2, v4, v5
	v_bfi_b32 v4, 0xffff, v1, v2
	v_bfi_b32 v1, 0xffff, v2, v1
	v_pk_mul_f16 v2, v4, 0.5 op_sel_hi:[1,0]
	v_pk_mul_f16 v1, v1, 0.5 op_sel_hi:[1,0]
	s_waitcnt vmcnt(5)
	v_pk_mul_f16 v5, v9, v2 op_sel_hi:[0,1]
	v_pk_fma_f16 v4, v9, v2, v1 op_sel:[1,0,0]
	v_pk_fma_f16 v10, v9, v2, v1 op_sel:[1,0,0] neg_lo:[1,0,0] neg_hi:[1,0,0]
	v_pk_fma_f16 v1, v9, v2, v1 op_sel:[1,0,0] neg_lo:[0,0,1] neg_hi:[0,0,1]
	v_pk_add_f16 v2, v4, v5 op_sel:[0,1] op_sel_hi:[1,0]
	v_pk_add_f16 v4, v4, v5 op_sel:[0,1] op_sel_hi:[1,0] neg_lo:[0,1] neg_hi:[0,1]
	v_pk_add_f16 v9, v10, v5 op_sel:[0,1] op_sel_hi:[1,0] neg_lo:[0,1] neg_hi:[0,1]
	;; [unrolled: 1-line block ×3, first 2 shown]
	v_bfi_b32 v4, 0xffff, v2, v4
	v_bfi_b32 v5, 0xffff, v9, v1
	v_lshlrev_b64 v[1:2], 2, v[28:29]
	ds_write_b32 v41, v4 offset:3840
	ds_write_b32 v0, v5 offset:10560
	ds_read_b32 v4, v41 offset:4320
	ds_read_b32 v5, v0 offset:10080
	v_add_co_u32 v1, s0, s1, v1
	v_add_co_ci_u32_e64 v2, s0, s4, v2, s0
	global_load_dword v1, v[1:2], off
	s_waitcnt lgkmcnt(0)
	v_pk_add_f16 v2, v4, v5 neg_lo:[0,1] neg_hi:[0,1]
	v_pk_add_f16 v4, v4, v5
	v_bfi_b32 v5, 0xffff, v2, v4
	v_bfi_b32 v2, 0xffff, v4, v2
	v_pk_mul_f16 v4, v5, 0.5 op_sel_hi:[1,0]
	v_pk_mul_f16 v2, v2, 0.5 op_sel_hi:[1,0]
	s_waitcnt vmcnt(5)
	v_pk_mul_f16 v9, v12, v4 op_sel_hi:[0,1]
	v_pk_fma_f16 v5, v12, v4, v2 op_sel:[1,0,0]
	v_pk_fma_f16 v10, v12, v4, v2 op_sel:[1,0,0] neg_lo:[1,0,0] neg_hi:[1,0,0]
	v_pk_fma_f16 v2, v12, v4, v2 op_sel:[1,0,0] neg_lo:[0,0,1] neg_hi:[0,0,1]
	v_pk_add_f16 v4, v5, v9 op_sel:[0,1] op_sel_hi:[1,0]
	v_pk_add_f16 v5, v5, v9 op_sel:[0,1] op_sel_hi:[1,0] neg_lo:[0,1] neg_hi:[0,1]
	v_pk_add_f16 v10, v10, v9 op_sel:[0,1] op_sel_hi:[1,0] neg_lo:[0,1] neg_hi:[0,1]
	;; [unrolled: 1-line block ×3, first 2 shown]
	v_bfi_b32 v4, 0xffff, v4, v5
	v_bfi_b32 v2, 0xffff, v10, v2
	ds_write_b32 v41, v4 offset:4320
	ds_write_b32 v0, v2 offset:10080
	ds_read_b32 v2, v41 offset:4800
	ds_read_b32 v4, v0 offset:9600
	s_waitcnt lgkmcnt(0)
	v_pk_add_f16 v5, v2, v4 neg_lo:[0,1] neg_hi:[0,1]
	v_pk_add_f16 v2, v2, v4
	v_bfi_b32 v4, 0xffff, v5, v2
	v_bfi_b32 v2, 0xffff, v2, v5
	v_pk_mul_f16 v4, v4, 0.5 op_sel_hi:[1,0]
	v_pk_mul_f16 v2, v2, 0.5 op_sel_hi:[1,0]
	s_waitcnt vmcnt(4)
	v_pk_mul_f16 v9, v3, v4 op_sel_hi:[0,1]
	v_pk_fma_f16 v5, v3, v4, v2 op_sel:[1,0,0]
	v_pk_fma_f16 v10, v3, v4, v2 op_sel:[1,0,0] neg_lo:[1,0,0] neg_hi:[1,0,0]
	v_pk_fma_f16 v2, v3, v4, v2 op_sel:[1,0,0] neg_lo:[0,0,1] neg_hi:[0,0,1]
	v_pk_add_f16 v3, v5, v9 op_sel:[0,1] op_sel_hi:[1,0]
	v_pk_add_f16 v4, v5, v9 op_sel:[0,1] op_sel_hi:[1,0] neg_lo:[0,1] neg_hi:[0,1]
	v_pk_add_f16 v5, v10, v9 op_sel:[0,1] op_sel_hi:[1,0] neg_lo:[0,1] neg_hi:[0,1]
	;; [unrolled: 1-line block ×3, first 2 shown]
	v_bfi_b32 v3, 0xffff, v3, v4
	v_bfi_b32 v2, 0xffff, v5, v2
	ds_write_b32 v41, v3 offset:4800
	ds_write_b32 v0, v2 offset:9600
	ds_read_b32 v2, v41 offset:5280
	ds_read_b32 v3, v0 offset:9120
	s_waitcnt lgkmcnt(0)
	v_pk_add_f16 v4, v2, v3 neg_lo:[0,1] neg_hi:[0,1]
	v_pk_add_f16 v2, v2, v3
	v_bfi_b32 v3, 0xffff, v4, v2
	v_bfi_b32 v2, 0xffff, v2, v4
	v_pk_mul_f16 v3, v3, 0.5 op_sel_hi:[1,0]
	v_pk_mul_f16 v2, v2, 0.5 op_sel_hi:[1,0]
	s_waitcnt vmcnt(3)
	v_pk_fma_f16 v4, v7, v3, v2 op_sel:[1,0,0]
	v_pk_mul_f16 v5, v7, v3 op_sel_hi:[0,1]
	v_pk_fma_f16 v9, v7, v3, v2 op_sel:[1,0,0] neg_lo:[1,0,0] neg_hi:[1,0,0]
	v_pk_fma_f16 v2, v7, v3, v2 op_sel:[1,0,0] neg_lo:[0,0,1] neg_hi:[0,0,1]
	v_pk_add_f16 v3, v4, v5 op_sel:[0,1] op_sel_hi:[1,0]
	v_pk_add_f16 v4, v4, v5 op_sel:[0,1] op_sel_hi:[1,0] neg_lo:[0,1] neg_hi:[0,1]
	v_pk_add_f16 v7, v9, v5 op_sel:[0,1] op_sel_hi:[1,0] neg_lo:[0,1] neg_hi:[0,1]
	;; [unrolled: 1-line block ×3, first 2 shown]
	v_bfi_b32 v3, 0xffff, v3, v4
	v_bfi_b32 v2, 0xffff, v7, v2
	ds_write_b32 v41, v3 offset:5280
	ds_write_b32 v0, v2 offset:9120
	ds_read_b32 v2, v41 offset:5760
	ds_read_b32 v3, v0 offset:8640
	s_waitcnt lgkmcnt(0)
	v_pk_add_f16 v4, v2, v3 neg_lo:[0,1] neg_hi:[0,1]
	v_pk_add_f16 v2, v2, v3
	v_bfi_b32 v3, 0xffff, v4, v2
	v_bfi_b32 v2, 0xffff, v2, v4
	v_pk_mul_f16 v3, v3, 0.5 op_sel_hi:[1,0]
	v_pk_mul_f16 v2, v2, 0.5 op_sel_hi:[1,0]
	s_waitcnt vmcnt(2)
	v_pk_mul_f16 v5, v8, v3 op_sel_hi:[0,1]
	v_pk_fma_f16 v4, v8, v3, v2 op_sel:[1,0,0]
	v_pk_fma_f16 v7, v8, v3, v2 op_sel:[1,0,0] neg_lo:[1,0,0] neg_hi:[1,0,0]
	v_pk_fma_f16 v2, v8, v3, v2 op_sel:[1,0,0] neg_lo:[0,0,1] neg_hi:[0,0,1]
	v_pk_add_f16 v3, v4, v5 op_sel:[0,1] op_sel_hi:[1,0]
	v_pk_add_f16 v4, v4, v5 op_sel:[0,1] op_sel_hi:[1,0] neg_lo:[0,1] neg_hi:[0,1]
	v_pk_add_f16 v7, v7, v5 op_sel:[0,1] op_sel_hi:[1,0] neg_lo:[0,1] neg_hi:[0,1]
	;; [unrolled: 1-line block ×3, first 2 shown]
	v_bfi_b32 v3, 0xffff, v3, v4
	v_bfi_b32 v2, 0xffff, v7, v2
	ds_write_b32 v41, v3 offset:5760
	ds_write_b32 v0, v2 offset:8640
	ds_read_b32 v2, v41 offset:6240
	ds_read_b32 v3, v0 offset:8160
	s_waitcnt lgkmcnt(0)
	v_pk_add_f16 v4, v2, v3 neg_lo:[0,1] neg_hi:[0,1]
	v_pk_add_f16 v2, v2, v3
	v_bfi_b32 v3, 0xffff, v4, v2
	v_bfi_b32 v2, 0xffff, v2, v4
	v_pk_mul_f16 v3, v3, 0.5 op_sel_hi:[1,0]
	v_pk_mul_f16 v2, v2, 0.5 op_sel_hi:[1,0]
	s_waitcnt vmcnt(1)
	v_pk_fma_f16 v4, v6, v3, v2 op_sel:[1,0,0]
	v_pk_mul_f16 v5, v6, v3 op_sel_hi:[0,1]
	v_pk_fma_f16 v7, v6, v3, v2 op_sel:[1,0,0] neg_lo:[1,0,0] neg_hi:[1,0,0]
	v_pk_fma_f16 v2, v6, v3, v2 op_sel:[1,0,0] neg_lo:[0,0,1] neg_hi:[0,0,1]
	v_pk_add_f16 v3, v4, v5 op_sel:[0,1] op_sel_hi:[1,0]
	v_pk_add_f16 v4, v4, v5 op_sel:[0,1] op_sel_hi:[1,0] neg_lo:[0,1] neg_hi:[0,1]
	v_pk_add_f16 v6, v7, v5 op_sel:[0,1] op_sel_hi:[1,0] neg_lo:[0,1] neg_hi:[0,1]
	v_pk_add_f16 v2, v2, v5 op_sel:[0,1] op_sel_hi:[1,0] neg_lo:[0,1] neg_hi:[0,1]
	v_bfi_b32 v3, 0xffff, v3, v4
	v_bfi_b32 v2, 0xffff, v6, v2
	ds_write_b32 v41, v3 offset:6240
	ds_write_b32 v0, v2 offset:8160
	ds_read_b32 v2, v41 offset:6720
	ds_read_b32 v3, v0 offset:7680
	s_waitcnt lgkmcnt(0)
	v_pk_add_f16 v4, v2, v3 neg_lo:[0,1] neg_hi:[0,1]
	v_pk_add_f16 v2, v2, v3
	v_bfi_b32 v3, 0xffff, v4, v2
	v_bfi_b32 v2, 0xffff, v2, v4
	v_pk_mul_f16 v3, v3, 0.5 op_sel_hi:[1,0]
	v_pk_mul_f16 v2, v2, 0.5 op_sel_hi:[1,0]
	s_waitcnt vmcnt(0)
	v_pk_mul_f16 v5, v1, v3 op_sel_hi:[0,1]
	v_pk_fma_f16 v4, v1, v3, v2 op_sel:[1,0,0]
	v_pk_fma_f16 v6, v1, v3, v2 op_sel:[1,0,0] neg_lo:[1,0,0] neg_hi:[1,0,0]
	v_pk_fma_f16 v1, v1, v3, v2 op_sel:[1,0,0] neg_lo:[0,0,1] neg_hi:[0,0,1]
	v_pk_add_f16 v2, v4, v5 op_sel:[0,1] op_sel_hi:[1,0]
	v_pk_add_f16 v3, v4, v5 op_sel:[0,1] op_sel_hi:[1,0] neg_lo:[0,1] neg_hi:[0,1]
	v_pk_add_f16 v4, v6, v5 op_sel:[0,1] op_sel_hi:[1,0] neg_lo:[0,1] neg_hi:[0,1]
	;; [unrolled: 1-line block ×3, first 2 shown]
	v_bfi_b32 v2, 0xffff, v2, v3
	v_bfi_b32 v1, 0xffff, v4, v1
	ds_write_b32 v41, v2 offset:6720
	ds_write_b32 v0, v1 offset:7680
	s_waitcnt lgkmcnt(0)
	s_barrier
	buffer_gl0_inv
	s_and_saveexec_b32 s0, vcc_lo
	s_cbranch_execz .LBB0_20
; %bb.18:
	v_mul_lo_u32 v2, s3, v30
	v_mul_lo_u32 v3, s2, v31
	v_mad_u64_u32 v[0:1], null, s2, v30, 0
	v_lshl_add_u32 v18, v24, 2, 0
	v_mov_b32_e32 v25, v29
	v_add_nc_u32_e32 v28, 0x78, v24
	ds_read2_b32 v[4:5], v18 offset1:120
	v_add3_u32 v1, v1, v3, v2
	v_lshlrev_b64 v[2:3], 2, v[26:27]
	v_lshlrev_b64 v[6:7], 2, v[24:25]
	;; [unrolled: 1-line block ×3, first 2 shown]
	v_add_nc_u32_e32 v28, 0xf0, v24
	v_lshlrev_b64 v[0:1], 2, v[0:1]
	v_add_nc_u32_e32 v10, 0x200, v18
	v_add_nc_u32_e32 v11, 0x600, v18
	;; [unrolled: 1-line block ×3, first 2 shown]
	v_add_co_u32 v0, vcc_lo, s10, v0
	v_add_co_ci_u32_e32 v1, vcc_lo, s11, v1, vcc_lo
	v_add_co_u32 v0, vcc_lo, v0, v2
	v_add_co_ci_u32_e32 v1, vcc_lo, v1, v3, vcc_lo
	;; [unrolled: 2-line block ×4, first 2 shown]
	v_lshlrev_b64 v[8:9], 2, v[28:29]
	v_add_nc_u32_e32 v28, 0x168, v24
	s_waitcnt lgkmcnt(0)
	global_store_dword v[2:3], v4, off
	global_store_dword v[6:7], v5, off
	ds_read2_b32 v[2:3], v10 offset0:112 offset1:232
	ds_read2_b32 v[6:7], v11 offset0:96 offset1:216
	v_lshlrev_b64 v[4:5], 2, v[28:29]
	v_add_nc_u32_e32 v28, 0x1e0, v24
	v_add_co_u32 v8, vcc_lo, v0, v8
	v_add_co_ci_u32_e32 v9, vcc_lo, v1, v9, vcc_lo
	v_lshlrev_b64 v[10:11], 2, v[28:29]
	v_add_co_u32 v4, vcc_lo, v0, v4
	v_add_co_ci_u32_e32 v5, vcc_lo, v1, v5, vcc_lo
	v_add_nc_u32_e32 v28, 0x258, v24
	v_add_co_u32 v10, vcc_lo, v0, v10
	v_add_co_ci_u32_e32 v11, vcc_lo, v1, v11, vcc_lo
	v_lshlrev_b64 v[12:13], 2, v[28:29]
	v_add_nc_u32_e32 v28, 0x2d0, v24
	s_waitcnt lgkmcnt(1)
	global_store_dword v[8:9], v2, off
	global_store_dword v[4:5], v3, off
	s_waitcnt lgkmcnt(0)
	global_store_dword v[10:11], v6, off
	ds_read2_b32 v[2:3], v14 offset0:80 offset1:200
	v_add_nc_u32_e32 v6, 0xe00, v18
	v_add_nc_u32_e32 v14, 0x1600, v18
	v_lshlrev_b64 v[4:5], 2, v[28:29]
	v_add_nc_u32_e32 v28, 0x348, v24
	v_add_co_u32 v8, vcc_lo, v0, v12
	v_add_co_ci_u32_e32 v9, vcc_lo, v1, v13, vcc_lo
	v_lshlrev_b64 v[10:11], 2, v[28:29]
	v_add_co_u32 v4, vcc_lo, v0, v4
	v_add_nc_u32_e32 v28, 0x3c0, v24
	v_add_co_ci_u32_e32 v5, vcc_lo, v1, v5, vcc_lo
	v_add_co_u32 v10, vcc_lo, v0, v10
	v_add_co_ci_u32_e32 v11, vcc_lo, v1, v11, vcc_lo
	v_lshlrev_b64 v[12:13], 2, v[28:29]
	v_add_nc_u32_e32 v28, 0x438, v24
	global_store_dword v[8:9], v7, off
	s_waitcnt lgkmcnt(0)
	global_store_dword v[4:5], v2, off
	global_store_dword v[10:11], v3, off
	v_add_nc_u32_e32 v8, 0x1200, v18
	ds_read2_b32 v[2:3], v6 offset0:64 offset1:184
	ds_read2_b32 v[14:15], v14 offset0:32 offset1:152
	v_lshlrev_b64 v[4:5], 2, v[28:29]
	v_add_nc_u32_e32 v28, 0x4b0, v24
	ds_read2_b32 v[8:9], v8 offset0:48 offset1:168
	v_add_co_u32 v6, vcc_lo, v0, v12
	v_add_co_ci_u32_e32 v7, vcc_lo, v1, v13, vcc_lo
	v_lshlrev_b64 v[10:11], 2, v[28:29]
	v_add_nc_u32_e32 v28, 0x528, v24
	v_add_co_u32 v4, vcc_lo, v0, v4
	v_add_co_ci_u32_e32 v5, vcc_lo, v1, v5, vcc_lo
	v_lshlrev_b64 v[12:13], 2, v[28:29]
	v_add_nc_u32_e32 v28, 0x5a0, v24
	;; [unrolled: 4-line block ×3, first 2 shown]
	v_add_co_u32 v12, vcc_lo, v0, v12
	v_add_co_ci_u32_e32 v13, vcc_lo, v1, v13, vcc_lo
	s_waitcnt lgkmcnt(2)
	global_store_dword v[6:7], v2, off
	global_store_dword v[4:5], v3, off
	s_waitcnt lgkmcnt(0)
	global_store_dword v[10:11], v8, off
	global_store_dword v[12:13], v9, off
	v_lshlrev_b64 v[2:3], 2, v[28:29]
	v_add_co_u32 v4, vcc_lo, v0, v16
	v_add_co_ci_u32_e32 v5, vcc_lo, v1, v17, vcc_lo
	v_add_nc_u32_e32 v28, 0x690, v24
	v_add_co_u32 v2, vcc_lo, v0, v2
	v_add_co_ci_u32_e32 v3, vcc_lo, v1, v3, vcc_lo
	v_add_nc_u32_e32 v8, 0x1a00, v18
	v_add_nc_u32_e32 v9, 0x1c00, v18
	v_lshlrev_b64 v[6:7], 2, v[28:29]
	v_add_nc_u32_e32 v28, 0x708, v24
	global_store_dword v[2:3], v15, off
	ds_read2_b32 v[2:3], v8 offset0:16 offset1:136
	ds_read2_b32 v[8:9], v9 offset0:128 offset1:248
	global_store_dword v[4:5], v14, off
	v_lshlrev_b64 v[4:5], 2, v[28:29]
	v_add_nc_u32_e32 v28, 0x780, v24
	v_add_co_u32 v6, vcc_lo, v0, v6
	v_add_co_ci_u32_e32 v7, vcc_lo, v1, v7, vcc_lo
	v_lshlrev_b64 v[10:11], 2, v[28:29]
	v_add_co_u32 v4, vcc_lo, v0, v4
	v_add_co_ci_u32_e32 v5, vcc_lo, v1, v5, vcc_lo
	v_add_nc_u32_e32 v28, 0x7f8, v24
	v_add_co_u32 v10, vcc_lo, v0, v10
	v_add_nc_u32_e32 v14, 0x2000, v18
	v_add_co_ci_u32_e32 v11, vcc_lo, v1, v11, vcc_lo
	v_lshlrev_b64 v[12:13], 2, v[28:29]
	v_add_nc_u32_e32 v28, 0x870, v24
	s_waitcnt lgkmcnt(1)
	global_store_dword v[6:7], v2, off
	global_store_dword v[4:5], v3, off
	s_waitcnt lgkmcnt(0)
	global_store_dword v[10:11], v8, off
	ds_read2_b32 v[2:3], v14 offset0:112 offset1:232
	v_add_nc_u32_e32 v8, 0x2400, v18
	v_add_nc_u32_e32 v14, 0x2c00, v18
	v_lshlrev_b64 v[4:5], 2, v[28:29]
	v_add_nc_u32_e32 v28, 0x8e8, v24
	v_add_co_u32 v6, vcc_lo, v0, v12
	v_add_co_ci_u32_e32 v7, vcc_lo, v1, v13, vcc_lo
	v_lshlrev_b64 v[10:11], 2, v[28:29]
	v_add_co_u32 v4, vcc_lo, v0, v4
	v_add_co_ci_u32_e32 v5, vcc_lo, v1, v5, vcc_lo
	v_add_nc_u32_e32 v28, 0x960, v24
	v_add_co_u32 v10, vcc_lo, v0, v10
	v_add_co_ci_u32_e32 v11, vcc_lo, v1, v11, vcc_lo
	v_lshlrev_b64 v[12:13], 2, v[28:29]
	v_add_nc_u32_e32 v28, 0x9d8, v24
	global_store_dword v[6:7], v9, off
	s_waitcnt lgkmcnt(0)
	global_store_dword v[4:5], v2, off
	global_store_dword v[10:11], v3, off
	ds_read2_b32 v[2:3], v8 offset0:96 offset1:216
	v_add_nc_u32_e32 v8, 0x2800, v18
	ds_read2_b32 v[14:15], v14 offset0:64 offset1:184
	v_lshlrev_b64 v[4:5], 2, v[28:29]
	v_add_nc_u32_e32 v28, 0xa50, v24
	v_add_co_u32 v6, vcc_lo, v0, v12
	ds_read2_b32 v[8:9], v8 offset0:80 offset1:200
	v_add_co_ci_u32_e32 v7, vcc_lo, v1, v13, vcc_lo
	v_lshlrev_b64 v[10:11], 2, v[28:29]
	v_add_nc_u32_e32 v28, 0xac8, v24
	v_add_co_u32 v4, vcc_lo, v0, v4
	v_add_co_ci_u32_e32 v5, vcc_lo, v1, v5, vcc_lo
	v_lshlrev_b64 v[12:13], 2, v[28:29]
	v_add_nc_u32_e32 v28, 0xb40, v24
	v_add_co_u32 v10, vcc_lo, v0, v10
	;; [unrolled: 4-line block ×3, first 2 shown]
	v_add_co_ci_u32_e32 v13, vcc_lo, v1, v13, vcc_lo
	s_waitcnt lgkmcnt(2)
	global_store_dword v[6:7], v2, off
	global_store_dword v[4:5], v3, off
	s_waitcnt lgkmcnt(0)
	global_store_dword v[10:11], v8, off
	global_store_dword v[12:13], v9, off
	v_lshlrev_b64 v[2:3], 2, v[28:29]
	v_add_nc_u32_e32 v28, 0xc30, v24
	v_add_co_u32 v4, vcc_lo, v0, v16
	v_add_co_ci_u32_e32 v5, vcc_lo, v1, v17, vcc_lo
	v_lshlrev_b64 v[6:7], 2, v[28:29]
	v_add_nc_u32_e32 v28, 0xca8, v24
	v_add_co_u32 v2, vcc_lo, v0, v2
	v_add_co_ci_u32_e32 v3, vcc_lo, v1, v3, vcc_lo
	v_add_nc_u32_e32 v8, 0x3000, v18
	global_store_dword v[4:5], v14, off
	v_lshlrev_b64 v[4:5], 2, v[28:29]
	v_add_nc_u32_e32 v28, 0xd20, v24
	v_add_nc_u32_e32 v9, 0x3400, v18
	global_store_dword v[2:3], v15, off
	ds_read2_b32 v[2:3], v8 offset0:48 offset1:168
	v_add_co_u32 v6, vcc_lo, v0, v6
	v_lshlrev_b64 v[10:11], 2, v[28:29]
	v_add_nc_u32_e32 v28, 0xd98, v24
	ds_read2_b32 v[8:9], v9 offset0:32 offset1:152
	v_add_co_ci_u32_e32 v7, vcc_lo, v1, v7, vcc_lo
	v_add_co_u32 v4, vcc_lo, v0, v4
	v_lshlrev_b64 v[12:13], 2, v[28:29]
	v_add_co_ci_u32_e32 v5, vcc_lo, v1, v5, vcc_lo
	v_add_co_u32 v10, vcc_lo, v0, v10
	v_add_co_ci_u32_e32 v11, vcc_lo, v1, v11, vcc_lo
	v_add_co_u32 v12, vcc_lo, v0, v12
	v_add_co_ci_u32_e32 v13, vcc_lo, v1, v13, vcc_lo
	v_cmp_eq_u32_e32 vcc_lo, 0x77, v24
	s_waitcnt lgkmcnt(1)
	global_store_dword v[6:7], v2, off
	global_store_dword v[4:5], v3, off
	s_waitcnt lgkmcnt(0)
	global_store_dword v[10:11], v8, off
	global_store_dword v[12:13], v9, off
	s_and_b32 exec_lo, exec_lo, vcc_lo
	s_cbranch_execz .LBB0_20
; %bb.19:
	v_mov_b32_e32 v2, 0
	v_add_co_u32 v0, vcc_lo, 0x3800, v0
	v_add_co_ci_u32_e32 v1, vcc_lo, 0, v1, vcc_lo
	ds_read_b32 v2, v2 offset:14400
	s_waitcnt lgkmcnt(0)
	global_store_dword v[0:1], v2, off offset:64
.LBB0_20:
	s_endpgm
	.section	.rodata,"a",@progbits
	.p2align	6, 0x0
	.amdhsa_kernel fft_rtc_fwd_len3600_factors_10_10_6_6_wgs_120_tpt_120_halfLds_half_op_CI_CI_unitstride_sbrr_R2C_dirReg
		.amdhsa_group_segment_fixed_size 0
		.amdhsa_private_segment_fixed_size 0
		.amdhsa_kernarg_size 104
		.amdhsa_user_sgpr_count 6
		.amdhsa_user_sgpr_private_segment_buffer 1
		.amdhsa_user_sgpr_dispatch_ptr 0
		.amdhsa_user_sgpr_queue_ptr 0
		.amdhsa_user_sgpr_kernarg_segment_ptr 1
		.amdhsa_user_sgpr_dispatch_id 0
		.amdhsa_user_sgpr_flat_scratch_init 0
		.amdhsa_user_sgpr_private_segment_size 0
		.amdhsa_wavefront_size32 1
		.amdhsa_uses_dynamic_stack 0
		.amdhsa_system_sgpr_private_segment_wavefront_offset 0
		.amdhsa_system_sgpr_workgroup_id_x 1
		.amdhsa_system_sgpr_workgroup_id_y 0
		.amdhsa_system_sgpr_workgroup_id_z 0
		.amdhsa_system_sgpr_workgroup_info 0
		.amdhsa_system_vgpr_workitem_id 0
		.amdhsa_next_free_vgpr 109
		.amdhsa_next_free_sgpr 27
		.amdhsa_reserve_vcc 1
		.amdhsa_reserve_flat_scratch 0
		.amdhsa_float_round_mode_32 0
		.amdhsa_float_round_mode_16_64 0
		.amdhsa_float_denorm_mode_32 3
		.amdhsa_float_denorm_mode_16_64 3
		.amdhsa_dx10_clamp 1
		.amdhsa_ieee_mode 1
		.amdhsa_fp16_overflow 0
		.amdhsa_workgroup_processor_mode 1
		.amdhsa_memory_ordered 1
		.amdhsa_forward_progress 0
		.amdhsa_shared_vgpr_count 0
		.amdhsa_exception_fp_ieee_invalid_op 0
		.amdhsa_exception_fp_denorm_src 0
		.amdhsa_exception_fp_ieee_div_zero 0
		.amdhsa_exception_fp_ieee_overflow 0
		.amdhsa_exception_fp_ieee_underflow 0
		.amdhsa_exception_fp_ieee_inexact 0
		.amdhsa_exception_int_div_zero 0
	.end_amdhsa_kernel
	.text
.Lfunc_end0:
	.size	fft_rtc_fwd_len3600_factors_10_10_6_6_wgs_120_tpt_120_halfLds_half_op_CI_CI_unitstride_sbrr_R2C_dirReg, .Lfunc_end0-fft_rtc_fwd_len3600_factors_10_10_6_6_wgs_120_tpt_120_halfLds_half_op_CI_CI_unitstride_sbrr_R2C_dirReg
                                        ; -- End function
	.section	.AMDGPU.csdata,"",@progbits
; Kernel info:
; codeLenInByte = 21484
; NumSgprs: 29
; NumVgprs: 109
; ScratchSize: 0
; MemoryBound: 0
; FloatMode: 240
; IeeeMode: 1
; LDSByteSize: 0 bytes/workgroup (compile time only)
; SGPRBlocks: 3
; VGPRBlocks: 13
; NumSGPRsForWavesPerEU: 29
; NumVGPRsForWavesPerEU: 109
; Occupancy: 9
; WaveLimiterHint : 1
; COMPUTE_PGM_RSRC2:SCRATCH_EN: 0
; COMPUTE_PGM_RSRC2:USER_SGPR: 6
; COMPUTE_PGM_RSRC2:TRAP_HANDLER: 0
; COMPUTE_PGM_RSRC2:TGID_X_EN: 1
; COMPUTE_PGM_RSRC2:TGID_Y_EN: 0
; COMPUTE_PGM_RSRC2:TGID_Z_EN: 0
; COMPUTE_PGM_RSRC2:TIDIG_COMP_CNT: 0
	.text
	.p2alignl 6, 3214868480
	.fill 48, 4, 3214868480
	.type	__hip_cuid_ac00e578bb9c06d2,@object ; @__hip_cuid_ac00e578bb9c06d2
	.section	.bss,"aw",@nobits
	.globl	__hip_cuid_ac00e578bb9c06d2
__hip_cuid_ac00e578bb9c06d2:
	.byte	0                               ; 0x0
	.size	__hip_cuid_ac00e578bb9c06d2, 1

	.ident	"AMD clang version 19.0.0git (https://github.com/RadeonOpenCompute/llvm-project roc-6.4.0 25133 c7fe45cf4b819c5991fe208aaa96edf142730f1d)"
	.section	".note.GNU-stack","",@progbits
	.addrsig
	.addrsig_sym __hip_cuid_ac00e578bb9c06d2
	.amdgpu_metadata
---
amdhsa.kernels:
  - .args:
      - .actual_access:  read_only
        .address_space:  global
        .offset:         0
        .size:           8
        .value_kind:     global_buffer
      - .offset:         8
        .size:           8
        .value_kind:     by_value
      - .actual_access:  read_only
        .address_space:  global
        .offset:         16
        .size:           8
        .value_kind:     global_buffer
      - .actual_access:  read_only
        .address_space:  global
        .offset:         24
        .size:           8
        .value_kind:     global_buffer
      - .actual_access:  read_only
        .address_space:  global
        .offset:         32
        .size:           8
        .value_kind:     global_buffer
      - .offset:         40
        .size:           8
        .value_kind:     by_value
      - .actual_access:  read_only
        .address_space:  global
        .offset:         48
        .size:           8
        .value_kind:     global_buffer
      - .actual_access:  read_only
        .address_space:  global
        .offset:         56
        .size:           8
        .value_kind:     global_buffer
      - .offset:         64
        .size:           4
        .value_kind:     by_value
      - .actual_access:  read_only
        .address_space:  global
        .offset:         72
        .size:           8
        .value_kind:     global_buffer
      - .actual_access:  read_only
        .address_space:  global
        .offset:         80
        .size:           8
        .value_kind:     global_buffer
      - .actual_access:  read_only
        .address_space:  global
        .offset:         88
        .size:           8
        .value_kind:     global_buffer
      - .actual_access:  write_only
        .address_space:  global
        .offset:         96
        .size:           8
        .value_kind:     global_buffer
    .group_segment_fixed_size: 0
    .kernarg_segment_align: 8
    .kernarg_segment_size: 104
    .language:       OpenCL C
    .language_version:
      - 2
      - 0
    .max_flat_workgroup_size: 120
    .name:           fft_rtc_fwd_len3600_factors_10_10_6_6_wgs_120_tpt_120_halfLds_half_op_CI_CI_unitstride_sbrr_R2C_dirReg
    .private_segment_fixed_size: 0
    .sgpr_count:     29
    .sgpr_spill_count: 0
    .symbol:         fft_rtc_fwd_len3600_factors_10_10_6_6_wgs_120_tpt_120_halfLds_half_op_CI_CI_unitstride_sbrr_R2C_dirReg.kd
    .uniform_work_group_size: 1
    .uses_dynamic_stack: false
    .vgpr_count:     109
    .vgpr_spill_count: 0
    .wavefront_size: 32
    .workgroup_processor_mode: 1
amdhsa.target:   amdgcn-amd-amdhsa--gfx1030
amdhsa.version:
  - 1
  - 2
...

	.end_amdgpu_metadata
